;; amdgpu-corpus repo=ROCm/rocFFT kind=compiled arch=gfx906 opt=O3
	.text
	.amdgcn_target "amdgcn-amd-amdhsa--gfx906"
	.amdhsa_code_object_version 6
	.protected	bluestein_single_fwd_len364_dim1_half_op_CI_CI ; -- Begin function bluestein_single_fwd_len364_dim1_half_op_CI_CI
	.globl	bluestein_single_fwd_len364_dim1_half_op_CI_CI
	.p2align	8
	.type	bluestein_single_fwd_len364_dim1_half_op_CI_CI,@function
bluestein_single_fwd_len364_dim1_half_op_CI_CI: ; @bluestein_single_fwd_len364_dim1_half_op_CI_CI
; %bb.0:
	s_load_dwordx4 s[0:3], s[4:5], 0x28
	v_mul_u32_u24_e32 v1, 0x4ed, v0
	v_add_u32_sdwa v10, s6, v1 dst_sel:DWORD dst_unused:UNUSED_PAD src0_sel:DWORD src1_sel:WORD_1
	v_mov_b32_e32 v11, 0
	s_waitcnt lgkmcnt(0)
	v_cmp_gt_u64_e32 vcc, s[0:1], v[10:11]
	s_and_saveexec_b64 s[0:1], vcc
	s_cbranch_execz .LBB0_23
; %bb.1:
	s_load_dwordx2 s[6:7], s[4:5], 0x0
	s_load_dwordx2 s[12:13], s[4:5], 0x38
	v_mov_b32_e32 v2, 52
	v_mul_lo_u16_sdwa v1, v1, v2 dst_sel:DWORD dst_unused:UNUSED_PAD src0_sel:WORD_1 src1_sel:DWORD
	v_sub_u16_e32 v27, v0, v1
	v_cmp_gt_u16_e32 vcc, 28, v27
	v_lshlrev_b32_e32 v26, 2, v27
	s_and_saveexec_b64 s[14:15], vcc
	s_cbranch_execz .LBB0_3
; %bb.2:
	s_load_dwordx2 s[0:1], s[4:5], 0x18
	s_waitcnt lgkmcnt(0)
	s_load_dwordx4 s[8:11], s[0:1], 0x0
	s_waitcnt lgkmcnt(0)
	v_mad_u64_u32 v[0:1], s[0:1], s10, v10, 0
	v_mad_u64_u32 v[2:3], s[0:1], s8, v27, 0
	;; [unrolled: 1-line block ×4, first 2 shown]
	v_mov_b32_e32 v1, v4
	v_lshlrev_b64 v[0:1], 2, v[0:1]
	v_mov_b32_e32 v3, v5
	v_mov_b32_e32 v6, s3
	v_lshlrev_b64 v[2:3], 2, v[2:3]
	v_add_co_u32_e64 v5, s[0:1], s2, v0
	v_addc_co_u32_e64 v6, s[0:1], v6, v1, s[0:1]
	v_add_co_u32_e64 v0, s[0:1], v5, v2
	v_addc_co_u32_e64 v1, s[0:1], v6, v3, s[0:1]
	s_mul_i32 s0, s9, 0x70
	s_mul_hi_u32 s2, s8, 0x70
	s_add_i32 s2, s2, s0
	s_mul_i32 s3, s8, 0x70
	global_load_dword v7, v[0:1], off
	v_mov_b32_e32 v2, s2
	v_add_co_u32_e64 v0, s[0:1], s3, v0
	v_addc_co_u32_e64 v1, s[0:1], v1, v2, s[0:1]
	v_mov_b32_e32 v3, s2
	v_add_co_u32_e64 v2, s[0:1], s3, v0
	v_addc_co_u32_e64 v3, s[0:1], v1, v3, s[0:1]
	global_load_dword v8, v[0:1], off
	global_load_dword v9, v[2:3], off
	global_load_dword v11, v26, s[6:7]
	global_load_dword v12, v26, s[6:7] offset:112
	global_load_dword v13, v26, s[6:7] offset:224
	v_mov_b32_e32 v1, s2
	v_add_co_u32_e64 v0, s[0:1], s3, v2
	v_addc_co_u32_e64 v1, s[0:1], v3, v1, s[0:1]
	v_mov_b32_e32 v4, s2
	v_add_co_u32_e64 v2, s[0:1], s3, v0
	v_addc_co_u32_e64 v3, s[0:1], v1, v4, s[0:1]
	global_load_dword v15, v[0:1], off
	global_load_dword v16, v[2:3], off
	v_mov_b32_e32 v14, s2
	v_add_co_u32_e64 v0, s[0:1], s3, v2
	v_or_b32_e32 v4, 0xe0, v27
	v_addc_co_u32_e64 v1, s[0:1], v3, v14, s[0:1]
	global_load_dword v14, v26, s[6:7] offset:336
	global_load_dword v17, v26, s[6:7] offset:448
	;; [unrolled: 1-line block ×5, first 2 shown]
	global_load_dword v21, v[0:1], off
	v_mad_u64_u32 v[2:3], s[0:1], s8, v4, 0
	v_mov_b32_e32 v22, s2
	v_add_co_u32_e64 v0, s[0:1], s3, v0
	v_addc_co_u32_e64 v1, s[0:1], v1, v22, s[0:1]
	global_load_dword v22, v[0:1], off
	v_mad_u64_u32 v[3:4], s[0:1], s9, v4, v[3:4]
	v_mov_b32_e32 v23, s2
	v_add_co_u32_e64 v0, s[0:1], s3, v0
	v_addc_co_u32_e64 v1, s[0:1], v1, v23, s[0:1]
	global_load_dword v4, v[0:1], off
	v_lshlrev_b64 v[2:3], 2, v[2:3]
	v_mov_b32_e32 v23, 0xe0
	v_mad_u64_u32 v[0:1], s[0:1], s8, v23, v[0:1]
	v_add_co_u32_e64 v2, s[0:1], v5, v2
	v_addc_co_u32_e64 v3, s[0:1], v6, v3, s[0:1]
	global_load_dword v5, v[2:3], off
	global_load_dword v6, v26, s[6:7] offset:896
	s_mul_i32 s0, s9, 0xe0
	v_add_u32_e32 v1, s0, v1
	global_load_dword v2, v[0:1], off
	global_load_dword v3, v26, s[6:7] offset:1008
	v_mov_b32_e32 v23, s2
	v_add_co_u32_e64 v0, s[0:1], s3, v0
	v_addc_co_u32_e64 v1, s[0:1], v1, v23, s[0:1]
	global_load_dword v23, v[0:1], off
	global_load_dword v25, v26, s[6:7] offset:1120
	v_mov_b32_e32 v24, s2
	v_add_co_u32_e64 v0, s[0:1], s3, v0
	v_addc_co_u32_e64 v1, s[0:1], v1, v24, s[0:1]
	;; [unrolled: 5-line block ×3, first 2 shown]
	global_load_dword v30, v[0:1], off
	global_load_dword v31, v26, s[6:7] offset:1344
	s_waitcnt vmcnt(25)
	v_lshrrev_b32_e32 v29, 16, v7
	s_waitcnt vmcnt(22)
	v_mul_f16_sdwa v0, v11, v7 dst_sel:DWORD dst_unused:UNUSED_PAD src0_sel:WORD_1 src1_sel:DWORD
	v_mul_f16_sdwa v1, v11, v29 dst_sel:DWORD dst_unused:UNUSED_PAD src0_sel:WORD_1 src1_sel:DWORD
	v_fma_f16 v0, v11, v29, -v0
	v_fma_f16 v1, v11, v7, v1
	v_lshrrev_b32_e32 v7, 16, v8
	s_waitcnt vmcnt(21)
	v_mul_f16_sdwa v11, v12, v8 dst_sel:DWORD dst_unused:UNUSED_PAD src0_sel:WORD_1 src1_sel:DWORD
	v_fma_f16 v11, v12, v7, -v11
	v_mul_f16_sdwa v7, v12, v7 dst_sel:DWORD dst_unused:UNUSED_PAD src0_sel:WORD_1 src1_sel:DWORD
	v_fma_f16 v7, v12, v8, v7
	v_pack_b32_f16 v0, v1, v0
	v_pack_b32_f16 v1, v7, v11
	v_lshrrev_b32_e32 v8, 16, v9
	s_waitcnt vmcnt(20)
	v_mul_f16_sdwa v12, v13, v9 dst_sel:DWORD dst_unused:UNUSED_PAD src0_sel:WORD_1 src1_sel:DWORD
	ds_write2_b32 v26, v0, v1 offset1:28
	s_waitcnt vmcnt(19)
	v_lshrrev_b32_e32 v0, 16, v15
	s_waitcnt vmcnt(17)
	v_mul_f16_sdwa v1, v14, v15 dst_sel:DWORD dst_unused:UNUSED_PAD src0_sel:WORD_1 src1_sel:DWORD
	v_fma_f16 v12, v13, v8, -v12
	v_mul_f16_sdwa v8, v13, v8 dst_sel:DWORD dst_unused:UNUSED_PAD src0_sel:WORD_1 src1_sel:DWORD
	v_fma_f16 v1, v14, v0, -v1
	v_mul_f16_sdwa v0, v14, v0 dst_sel:DWORD dst_unused:UNUSED_PAD src0_sel:WORD_1 src1_sel:DWORD
	v_fma_f16 v8, v13, v9, v8
	v_fma_f16 v0, v14, v15, v0
	v_pack_b32_f16 v8, v8, v12
	v_pack_b32_f16 v0, v0, v1
	v_lshrrev_b32_e32 v7, 16, v16
	s_waitcnt vmcnt(16)
	v_mul_f16_sdwa v9, v17, v16 dst_sel:DWORD dst_unused:UNUSED_PAD src0_sel:WORD_1 src1_sel:DWORD
	ds_write2_b32 v26, v8, v0 offset0:56 offset1:84
	s_waitcnt vmcnt(12)
	v_lshrrev_b32_e32 v0, 16, v21
	v_mul_f16_sdwa v1, v18, v21 dst_sel:DWORD dst_unused:UNUSED_PAD src0_sel:WORD_1 src1_sel:DWORD
	v_fma_f16 v9, v17, v7, -v9
	v_mul_f16_sdwa v7, v17, v7 dst_sel:DWORD dst_unused:UNUSED_PAD src0_sel:WORD_1 src1_sel:DWORD
	v_fma_f16 v1, v18, v0, -v1
	v_mul_f16_sdwa v0, v18, v0 dst_sel:DWORD dst_unused:UNUSED_PAD src0_sel:WORD_1 src1_sel:DWORD
	v_fma_f16 v7, v17, v16, v7
	v_fma_f16 v0, v18, v21, v0
	v_pack_b32_f16 v7, v7, v9
	v_pack_b32_f16 v0, v0, v1
	ds_write2_b32 v26, v7, v0 offset0:112 offset1:140
	s_waitcnt vmcnt(11)
	v_lshrrev_b32_e32 v0, 16, v22
	v_mul_f16_sdwa v1, v19, v0 dst_sel:DWORD dst_unused:UNUSED_PAD src0_sel:WORD_1 src1_sel:DWORD
	v_mul_f16_sdwa v7, v19, v22 dst_sel:DWORD dst_unused:UNUSED_PAD src0_sel:WORD_1 src1_sel:DWORD
	v_fma_f16 v1, v19, v22, v1
	v_fma_f16 v0, v19, v0, -v7
	v_pack_b32_f16 v0, v1, v0
	s_waitcnt vmcnt(10)
	v_lshrrev_b32_e32 v1, 16, v4
	v_mul_f16_sdwa v7, v20, v1 dst_sel:DWORD dst_unused:UNUSED_PAD src0_sel:WORD_1 src1_sel:DWORD
	v_fma_f16 v7, v20, v4, v7
	v_mul_f16_sdwa v4, v20, v4 dst_sel:DWORD dst_unused:UNUSED_PAD src0_sel:WORD_1 src1_sel:DWORD
	v_fma_f16 v1, v20, v1, -v4
	v_pack_b32_f16 v1, v7, v1
	ds_write2_b32 v26, v0, v1 offset0:168 offset1:196
	s_waitcnt vmcnt(9)
	v_lshrrev_b32_e32 v0, 16, v5
	s_waitcnt vmcnt(8)
	v_mul_f16_sdwa v1, v6, v0 dst_sel:DWORD dst_unused:UNUSED_PAD src0_sel:WORD_1 src1_sel:DWORD
	v_mul_f16_sdwa v4, v6, v5 dst_sel:DWORD dst_unused:UNUSED_PAD src0_sel:WORD_1 src1_sel:DWORD
	v_fma_f16 v1, v6, v5, v1
	v_fma_f16 v0, v6, v0, -v4
	v_pack_b32_f16 v0, v1, v0
	s_waitcnt vmcnt(7)
	v_lshrrev_b32_e32 v1, 16, v2
	s_waitcnt vmcnt(6)
	v_mul_f16_sdwa v4, v3, v1 dst_sel:DWORD dst_unused:UNUSED_PAD src0_sel:WORD_1 src1_sel:DWORD
	v_fma_f16 v4, v3, v2, v4
	v_mul_f16_sdwa v2, v3, v2 dst_sel:DWORD dst_unused:UNUSED_PAD src0_sel:WORD_1 src1_sel:DWORD
	v_fma_f16 v1, v3, v1, -v2
	v_pack_b32_f16 v1, v4, v1
	ds_write2_b32 v26, v0, v1 offset0:224 offset1:252
	s_waitcnt vmcnt(5)
	v_lshrrev_b32_e32 v0, 16, v23
	s_waitcnt vmcnt(4)
	v_mul_f16_sdwa v1, v25, v0 dst_sel:DWORD dst_unused:UNUSED_PAD src0_sel:WORD_1 src1_sel:DWORD
	v_mul_f16_sdwa v2, v25, v23 dst_sel:DWORD dst_unused:UNUSED_PAD src0_sel:WORD_1 src1_sel:DWORD
	v_fma_f16 v1, v25, v23, v1
	v_fma_f16 v0, v25, v0, -v2
	v_pack_b32_f16 v0, v1, v0
	s_waitcnt vmcnt(3)
	v_lshrrev_b32_e32 v1, 16, v24
	s_waitcnt vmcnt(2)
	v_mul_f16_sdwa v2, v28, v1 dst_sel:DWORD dst_unused:UNUSED_PAD src0_sel:WORD_1 src1_sel:DWORD
	v_mul_f16_sdwa v3, v28, v24 dst_sel:DWORD dst_unused:UNUSED_PAD src0_sel:WORD_1 src1_sel:DWORD
	v_fma_f16 v2, v28, v24, v2
	v_fma_f16 v1, v28, v1, -v3
	v_pack_b32_f16 v1, v2, v1
	v_add_u32_e32 v2, 0x400, v26
	ds_write2_b32 v2, v0, v1 offset0:24 offset1:52
	s_waitcnt vmcnt(1)
	v_lshrrev_b32_e32 v0, 16, v30
	s_waitcnt vmcnt(0)
	v_mul_f16_sdwa v1, v31, v0 dst_sel:DWORD dst_unused:UNUSED_PAD src0_sel:WORD_1 src1_sel:DWORD
	v_mul_f16_sdwa v2, v31, v30 dst_sel:DWORD dst_unused:UNUSED_PAD src0_sel:WORD_1 src1_sel:DWORD
	v_fma_f16 v1, v31, v30, v1
	v_fma_f16 v0, v31, v0, -v2
	v_pack_b32_f16 v0, v1, v0
	ds_write_b32 v26, v0 offset:1344
.LBB0_3:
	s_or_b64 exec, exec, s[14:15]
	s_load_dwordx2 s[0:1], s[4:5], 0x20
	s_load_dwordx2 s[2:3], s[4:5], 0x8
	v_mov_b32_e32 v0, 0
	s_waitcnt lgkmcnt(0)
	; wave barrier
	s_waitcnt lgkmcnt(0)
                                        ; implicit-def: $vgpr17
                                        ; implicit-def: $vgpr5
                                        ; implicit-def: $vgpr3
                                        ; implicit-def: $vgpr7
                                        ; implicit-def: $vgpr9
                                        ; implicit-def: $vgpr16
	s_and_saveexec_b64 s[4:5], vcc
	s_cbranch_execz .LBB0_5
; %bb.4:
	ds_read2_b32 v[0:1], v26 offset1:28
	ds_read2_b32 v[15:16], v26 offset0:56 offset1:84
	ds_read2_b32 v[8:9], v26 offset0:112 offset1:140
	;; [unrolled: 1-line block ×4, first 2 shown]
	v_add_u32_e32 v4, 0x400, v26
	ds_read2_b32 v[4:5], v4 offset0:24 offset1:52
	ds_read_b32 v17, v26 offset:1344
.LBB0_5:
	s_or_b64 exec, exec, s[4:5]
	s_waitcnt lgkmcnt(0)
	v_pk_add_f16 v13, v1, v17 neg_lo:[0,1] neg_hi:[0,1]
	s_mov_b32 s9, 0xbb7b
	v_pk_add_f16 v37, v17, v1
	s_mov_b32 s4, 0xb5ac
	v_mul_f16_sdwa v19, v13, s9 dst_sel:DWORD dst_unused:UNUSED_PAD src0_sel:WORD_1 src1_sel:DWORD
	v_pk_add_f16 v14, v15, v5 neg_lo:[0,1] neg_hi:[0,1]
	s_movk_i32 s8, 0x394e
	v_fma_f16 v11, v37, s4, v19
	s_mov_b32 s5, 0xb9fd
	v_pk_add_f16 v24, v5, v15
	v_mul_f16_sdwa v20, v14, s8 dst_sel:DWORD dst_unused:UNUSED_PAD src0_sel:WORD_1 src1_sel:DWORD
	s_mov_b32 s11, 0xb94e
	v_add_f16_e32 v11, v11, v0
	v_fma_f16 v12, v24, s5, v20
	v_mul_f16_sdwa v21, v13, s11 dst_sel:DWORD dst_unused:UNUSED_PAD src0_sel:WORD_1 src1_sel:DWORD
	s_movk_i32 s10, 0x3bf1
	v_add_f16_e32 v11, v12, v11
	s_movk_i32 s8, 0x2fb7
	v_fma_f16 v12, v37, s5, v21
	v_mul_f16_sdwa v22, v14, s10 dst_sel:DWORD dst_unused:UNUSED_PAD src0_sel:WORD_1 src1_sel:DWORD
	v_add_f16_e32 v12, v12, v0
	v_fma_f16 v18, v24, s8, v22
	v_add_f16_e32 v12, v18, v12
	s_movk_i32 s16, 0x3770
	v_pk_add_f16 v18, v16, v4 neg_lo:[0,1] neg_hi:[0,1]
	s_movk_i32 s14, 0x3b15
	v_pk_add_f16 v38, v4, v16
	v_mul_f16_sdwa v23, v18, s16 dst_sel:DWORD dst_unused:UNUSED_PAD src0_sel:WORD_1 src1_sel:DWORD
	s_mov_b32 s17, 0xba95
	v_fma_f16 v25, v38, s14, v23
	s_movk_i32 s15, 0x388b
	v_mul_f16_sdwa v35, v18, s17 dst_sel:DWORD dst_unused:UNUSED_PAD src0_sel:WORD_1 src1_sel:DWORD
	v_add_f16_e32 v11, v25, v11
	v_fma_f16 v25, v38, s15, v35
	v_add_f16_e32 v12, v25, v12
	s_mov_b32 s19, 0xbbf1
	v_pk_add_f16 v25, v8, v3 neg_lo:[0,1] neg_hi:[0,1]
	v_pk_add_f16 v41, v3, v8
	v_mul_f16_sdwa v36, v25, s19 dst_sel:DWORD dst_unused:UNUSED_PAD src0_sel:WORD_1 src1_sel:DWORD
	s_movk_i32 s20, 0x33a8
	v_fma_f16 v28, v41, s8, v36
	s_mov_b32 s18, 0xbbc4
	v_mul_f16_sdwa v39, v25, s20 dst_sel:DWORD dst_unused:UNUSED_PAD src0_sel:WORD_1 src1_sel:DWORD
	v_add_f16_e32 v11, v28, v11
	v_fma_f16 v28, v41, s18, v39
	v_add_f16_e32 v12, v28, v12
	v_pk_add_f16 v28, v9, v2 neg_lo:[0,1] neg_hi:[0,1]
	v_pk_add_f16 v44, v2, v9
	v_mul_f16_sdwa v40, v28, s20 dst_sel:DWORD dst_unused:UNUSED_PAD src0_sel:WORD_1 src1_sel:DWORD
	v_fma_f16 v29, v44, s18, v40
	v_mul_f16_sdwa v45, v28, s16 dst_sel:DWORD dst_unused:UNUSED_PAD src0_sel:WORD_1 src1_sel:DWORD
	s_movk_i32 s20, 0x3a95
	v_pk_add_f16 v111, v6, v7 neg_lo:[0,1] neg_hi:[0,1]
	v_add_f16_e32 v11, v29, v11
	v_fma_f16 v29, v44, s14, v45
	v_pk_add_f16 v48, v7, v6
	v_mul_f16_sdwa v49, v111, s20 dst_sel:DWORD dst_unused:UNUSED_PAD src0_sel:WORD_1 src1_sel:DWORD
	v_add_f16_e32 v29, v29, v12
	v_fma_f16 v12, v48, s15, v49
	v_mul_f16_sdwa v58, v111, s9 dst_sel:DWORD dst_unused:UNUSED_PAD src0_sel:WORD_1 src1_sel:DWORD
	s_mov_b32 s21, 0xb770
	v_add_f16_e32 v12, v12, v11
	v_fma_f16 v11, v48, s4, v58
	v_mul_f16_sdwa v42, v13, s21 dst_sel:DWORD dst_unused:UNUSED_PAD src0_sel:WORD_1 src1_sel:DWORD
	v_add_f16_e32 v11, v11, v29
	v_fma_f16 v29, v37, s14, v42
	v_mul_f16_sdwa v43, v14, s17 dst_sel:DWORD dst_unused:UNUSED_PAD src0_sel:WORD_1 src1_sel:DWORD
	v_add_f16_e32 v29, v29, v0
	v_fma_f16 v30, v24, s15, v43
	v_lshrrev_b32_e32 v101, 16, v37
	v_mul_f16_e32 v46, 0xba95, v13
	v_add_f16_e32 v29, v30, v29
	v_fma_f16 v30, v101, s15, -v46
	v_lshrrev_b32_e32 v82, 16, v24
	v_mul_f16_e32 v47, 0xbb7b, v14
	v_add_f16_sdwa v30, v30, v0 dst_sel:DWORD dst_unused:UNUSED_PAD src0_sel:DWORD src1_sel:WORD_1
	v_fma_f16 v31, v82, s4, -v47
	v_mul_f16_sdwa v50, v13, s19 dst_sel:DWORD dst_unused:UNUSED_PAD src0_sel:WORD_1 src1_sel:DWORD
	s_mov_b32 s21, 0xb3a8
	v_add_f16_e32 v30, v31, v30
	v_fma_f16 v31, v37, s8, v50
	v_mul_f16_sdwa v51, v14, s21 dst_sel:DWORD dst_unused:UNUSED_PAD src0_sel:WORD_1 src1_sel:DWORD
	v_add_f16_e32 v31, v31, v0
	v_fma_f16 v32, v24, s18, v51
	v_mul_f16_e32 v57, 0xbbf1, v13
	v_add_f16_e32 v31, v32, v31
	v_fma_f16 v32, v101, s8, -v57
	v_mul_f16_e32 v59, 0xb3a8, v14
	v_add_f16_sdwa v32, v32, v0 dst_sel:DWORD dst_unused:UNUSED_PAD src0_sel:DWORD src1_sel:WORD_1
	v_fma_f16 v33, v82, s18, -v59
	v_mul_f16_e32 v64, 0xbb7b, v13
	v_add_f16_e32 v32, v33, v32
	v_fma_f16 v33, v101, s4, -v64
	v_mul_f16_e32 v65, 0x394e, v14
	v_add_f16_sdwa v33, v33, v0 dst_sel:DWORD dst_unused:UNUSED_PAD src0_sel:DWORD src1_sel:WORD_1
	v_fma_f16 v34, v82, s5, -v65
	;; [unrolled: 6-line block ×3, first 2 shown]
	v_mul_f16_sdwa v86, v13, s21 dst_sel:DWORD dst_unused:UNUSED_PAD src0_sel:WORD_1 src1_sel:DWORD
	v_add_f16_e32 v34, v52, v34
	v_fma_f16 v52, v37, s18, v86
	v_mul_f16_sdwa v87, v14, s16 dst_sel:DWORD dst_unused:UNUSED_PAD src0_sel:WORD_1 src1_sel:DWORD
	v_add_f16_e32 v52, v52, v0
	v_fma_f16 v53, v24, s14, v87
	s_mov_b32 s22, 0x3b15388b
	v_add_f16_e32 v61, v53, v52
	s_mov_b32 s23, 0xba95b770
	v_pk_mul_f16 v53, v37, s22
	v_mul_f16_e32 v98, 0xb3a8, v13
	s_mov_b32 s22, 0x388bb5ac
	v_pk_fma_f16 v52, v13, s23, v53 op_sel:[0,0,1] op_sel_hi:[1,1,0] neg_lo:[1,0,0] neg_hi:[1,0,0]
	v_pk_fma_f16 v53, v13, s23, v53 op_sel:[0,0,1] op_sel_hi:[1,1,0]
	v_fma_f16 v13, v101, s18, -v98
	s_mov_b32 s23, 0xbb7bba95
	v_pk_mul_f16 v54, v24, s22
	v_mul_f16_e32 v100, 0x3770, v14
	v_add_f16_sdwa v13, v13, v0 dst_sel:DWORD dst_unused:UNUSED_PAD src0_sel:DWORD src1_sel:WORD_1
	v_pk_fma_f16 v55, v14, s23, v54 op_sel:[0,0,1] op_sel_hi:[1,1,0] neg_lo:[1,0,0] neg_hi:[1,0,0]
	v_pk_fma_f16 v56, v14, s23, v54 op_sel:[0,0,1] op_sel_hi:[1,1,0]
	v_fma_f16 v14, v82, s14, -v100
	v_mul_f16_sdwa v54, v18, s19 dst_sel:DWORD dst_unused:UNUSED_PAD src0_sel:WORD_1 src1_sel:DWORD
	v_add_f16_e32 v13, v14, v13
	v_fma_f16 v14, v38, s8, v54
	v_lshrrev_b32_e32 v92, 16, v38
	v_mul_f16_e32 v60, 0xb3a8, v18
	s_movk_i32 s19, 0x3b7b
	v_add_f16_e32 v14, v14, v29
	v_fma_f16 v29, v92, s18, -v60
	v_mul_f16_sdwa v66, v18, s19 dst_sel:DWORD dst_unused:UNUSED_PAD src0_sel:WORD_1 src1_sel:DWORD
	v_add_f16_e32 v29, v29, v30
	v_fma_f16 v30, v38, s4, v66
	v_mul_f16_e32 v68, 0x3b7b, v18
	v_add_f16_e32 v30, v30, v31
	v_fma_f16 v31, v92, s4, -v68
	v_mul_f16_e32 v74, 0x3770, v18
	v_add_f16_e32 v31, v31, v32
	v_fma_f16 v32, v92, s14, -v74
	;; [unrolled: 3-line block ×3, first 2 shown]
	v_mul_f16_sdwa v97, v18, s11 dst_sel:DWORD dst_unused:UNUSED_PAD src0_sel:WORD_1 src1_sel:DWORD
	v_add_f16_e32 v33, v33, v34
	v_fma_f16 v34, v38, s5, v97
	s_mov_b32 s19, 0x2fb7bbc4
	v_add_f16_e32 v34, v34, v61
	s_mov_b32 s22, 0xb3a8bbf1
	v_pk_mul_f16 v61, v38, s19
	v_mul_f16_e32 v106, 0xb94e, v18
	v_pk_fma_f16 v62, v18, s22, v61 op_sel:[0,0,1] op_sel_hi:[1,1,0] neg_lo:[1,0,0] neg_hi:[1,0,0]
	v_pk_fma_f16 v63, v18, s22, v61 op_sel:[0,0,1] op_sel_hi:[1,1,0]
	v_fma_f16 v18, v92, s5, -v106
	v_mul_f16_sdwa v61, v25, s9 dst_sel:DWORD dst_unused:UNUSED_PAD src0_sel:WORD_1 src1_sel:DWORD
	v_add_f16_e32 v13, v18, v13
	v_fma_f16 v18, v41, s4, v61
	v_lshrrev_b32_e32 v94, 16, v41
	v_mul_f16_e32 v67, 0x394e, v25
	v_add_f16_e32 v14, v18, v14
	v_fma_f16 v18, v94, s5, -v67
	v_mul_f16_sdwa v72, v25, s16 dst_sel:DWORD dst_unused:UNUSED_PAD src0_sel:WORD_1 src1_sel:DWORD
	v_add_f16_e32 v18, v18, v29
	v_fma_f16 v29, v41, s14, v72
	v_mul_f16_e32 v75, 0x3770, v25
	v_add_f16_e32 v29, v29, v30
	v_fma_f16 v30, v94, s14, -v75
	v_mul_f16_e32 v83, 0xbbf1, v25
	v_add_f16_e32 v30, v30, v31
	v_fma_f16 v31, v94, s8, -v83
	;; [unrolled: 3-line block ×3, first 2 shown]
	v_mul_f16_sdwa v104, v25, s20 dst_sel:DWORD dst_unused:UNUSED_PAD src0_sel:WORD_1 src1_sel:DWORD
	v_add_f16_e32 v32, v32, v33
	v_fma_f16 v33, v41, s15, v104
	s_mov_b32 s16, 0xb5acb9fd
	v_add_f16_e32 v33, v33, v34
	s_mov_b32 s19, 0x394ebb7b
	v_pk_mul_f16 v34, v41, s16
	v_mul_f16_e32 v109, 0x3a95, v25
	v_pk_fma_f16 v70, v25, s19, v34 op_sel:[0,0,1] op_sel_hi:[1,1,0] neg_lo:[1,0,0] neg_hi:[1,0,0]
	v_pk_fma_f16 v71, v25, s19, v34 op_sel:[0,0,1] op_sel_hi:[1,1,0]
	v_fma_f16 v25, v94, s15, -v109
	v_mul_f16_sdwa v69, v28, s11 dst_sel:DWORD dst_unused:UNUSED_PAD src0_sel:WORD_1 src1_sel:DWORD
	v_add_f16_e32 v13, v25, v13
	v_fma_f16 v25, v44, s5, v69
	v_lshrrev_b32_e32 v99, 16, v44
	v_mul_f16_e32 v73, 0x3bf1, v28
	v_add_f16_e32 v14, v25, v14
	v_fma_f16 v25, v99, s8, -v73
	v_mul_f16_sdwa v81, v28, s17 dst_sel:DWORD dst_unused:UNUSED_PAD src0_sel:WORD_1 src1_sel:DWORD
	v_add_f16_e32 v18, v25, v18
	v_fma_f16 v25, v44, s15, v81
	v_mul_f16_e32 v84, 0xba95, v28
	v_add_f16_e32 v25, v25, v29
	v_fma_f16 v29, v99, s15, -v84
	v_mul_f16_e32 v93, 0x33a8, v28
	v_add_f16_e32 v34, v29, v30
	v_fma_f16 v29, v99, s18, -v93
	;; [unrolled: 3-line block ×3, first 2 shown]
	v_mul_f16_sdwa v107, v28, s9 dst_sel:DWORD dst_unused:UNUSED_PAD src0_sel:WORD_1 src1_sel:DWORD
	v_add_f16_e32 v112, v29, v32
	v_fma_f16 v29, v44, s4, v107
	s_mov_b32 s9, 0xb9fd2fb7
	v_add_f16_e32 v113, v29, v33
	s_mov_b32 s16, 0x3bf1b94e
	v_pk_mul_f16 v29, v44, s9
	v_mul_f16_e32 v110, 0xbb7b, v28
	v_pk_fma_f16 v79, v28, s16, v29 op_sel:[0,0,1] op_sel_hi:[1,1,0] neg_lo:[1,0,0] neg_hi:[1,0,0]
	v_pk_fma_f16 v80, v28, s16, v29 op_sel:[0,0,1] op_sel_hi:[1,1,0]
	v_fma_f16 v28, v99, s4, -v110
	v_mul_f16_sdwa v76, v111, s21 dst_sel:DWORD dst_unused:UNUSED_PAD src0_sel:WORD_1 src1_sel:DWORD
	v_add_f16_e32 v28, v28, v13
	v_fma_f16 v13, v48, s18, v76
	v_add_f16_e32 v29, v13, v14
	v_add_f16_sdwa v13, v53, v0 dst_sel:DWORD dst_unused:UNUSED_PAD src0_sel:WORD_1 src1_sel:DWORD
	v_add_f16_sdwa v13, v56, v13 dst_sel:DWORD dst_unused:UNUSED_PAD src0_sel:WORD_1 src1_sel:DWORD
	;; [unrolled: 1-line block ×4, first 2 shown]
	v_mul_f16_sdwa v90, v111, s11 dst_sel:DWORD dst_unused:UNUSED_PAD src0_sel:WORD_1 src1_sel:DWORD
	v_add_f16_sdwa v14, v80, v13 dst_sel:DWORD dst_unused:UNUSED_PAD src0_sel:WORD_1 src1_sel:DWORD
	v_fma_f16 v13, v48, s5, v90
	v_lshrrev_b32_e32 v105, 16, v48
	v_mul_f16_e32 v88, 0x3770, v111
	v_add_f16_e32 v13, v13, v25
	v_fma_f16 v25, v105, s14, -v88
	v_mul_f16_e32 v95, 0xb94e, v111
	v_add_f16_e32 v30, v25, v18
	v_fma_f16 v18, v105, s5, -v95
	;; [unrolled: 3-line block ×4, first 2 shown]
	v_add_f16_e32 v33, v18, v112
	v_mul_f16_e32 v112, 0x3bf1, v111
	v_fma_f16 v18, v105, s8, -v112
	v_add_f16_e32 v25, v18, v28
	v_add_f16_sdwa v18, v52, v0 dst_sel:DWORD dst_unused:UNUSED_PAD src0_sel:DWORD src1_sel:WORD_1
	v_add_f16_e32 v18, v55, v18
	s_mov_b32 s9, 0xbbc43b15
	v_add_f16_e32 v18, v62, v18
	s_mov_b32 s16, 0x3770b3a8
	v_pk_mul_f16 v114, v48, s9
	v_add_f16_e32 v18, v70, v18
	v_pk_fma_f16 v85, v111, s16, v114 op_sel:[0,0,1] op_sel_hi:[1,1,0]
	v_pk_fma_f16 v91, v111, s16, v114 op_sel:[0,0,1] op_sel_hi:[1,1,0] neg_lo:[1,0,0] neg_hi:[1,0,0]
	v_add_f16_e32 v18, v79, v18
	v_mul_f16_sdwa v111, v111, s10 dst_sel:DWORD dst_unused:UNUSED_PAD src0_sel:WORD_1 src1_sel:DWORD
	v_add_f16_e32 v34, v91, v18
	v_fma_f16 v18, v48, s8, v111
	v_add_f16_sdwa v14, v85, v14 dst_sel:DWORD dst_unused:UNUSED_PAD src0_sel:WORD_1 src1_sel:DWORD
	v_add_f16_e32 v18, v18, v113
	v_mul_lo_u16_e32 v28, 13, v27
	s_waitcnt lgkmcnt(0)
	; wave barrier
	s_and_saveexec_b64 s[4:5], vcc
	s_cbranch_execz .LBB0_7
; %bb.6:
	v_mul_f16_e32 v115, 0x388b, v101
	v_mul_f16_e32 v117, 0x2fb7, v101
	;; [unrolled: 1-line block ×5, first 2 shown]
	v_add_f16_e32 v98, v98, v101
	v_mul_f16_e32 v101, 0x3b15, v82
	v_add_f16_e32 v100, v100, v101
	v_add_f16_sdwa v98, v98, v0 dst_sel:DWORD dst_unused:UNUSED_PAD src0_sel:DWORD src1_sel:WORD_1
	v_add_f16_e32 v98, v100, v98
	v_mul_f16_e32 v100, 0xb9fd, v92
	v_add_f16_e32 v100, v106, v100
	v_mul_f16_e32 v114, 0x3b15, v37
	v_mul_f16_e32 v116, 0x2fb7, v37
	;; [unrolled: 1-line block ×5, first 2 shown]
	v_add_f16_e32 v98, v100, v98
	v_mul_f16_e32 v100, 0x388b, v94
	v_mul_f16_e32 v122, 0x388b, v24
	;; [unrolled: 1-line block ×4, first 2 shown]
	v_add_f16_e32 v100, v109, v100
	v_mul_f16_e32 v109, 0x2fb7, v24
	v_mul_f16_e32 v24, 0x3b15, v24
	v_sub_f16_e32 v37, v37, v86
	v_sub_f16_e32 v24, v24, v87
	v_add_f16_e32 v37, v37, v0
	v_add_f16_e32 v24, v24, v37
	v_mul_f16_e32 v37, 0xb9fd, v38
	v_sub_f16_e32 v37, v37, v97
	v_add_f16_e32 v24, v37, v24
	v_mul_f16_e32 v37, 0x388b, v41
	v_sub_f16_e32 v37, v37, v104
	v_add_f16_e32 v98, v100, v98
	v_mul_f16_e32 v100, 0xb5ac, v99
	v_add_f16_e32 v24, v37, v24
	v_mul_f16_e32 v37, 0xb5ac, v44
	v_add_f16_e32 v100, v110, v100
	v_sub_f16_e32 v37, v37, v107
	v_mul_f16_e32 v123, 0xb5ac, v82
	v_mul_f16_e32 v125, 0xbbc4, v82
	;; [unrolled: 1-line block ×4, first 2 shown]
	v_add_f16_e32 v98, v100, v98
	v_mul_f16_e32 v100, 0x2fb7, v105
	v_add_f16_e32 v24, v37, v24
	v_mul_f16_e32 v37, 0x2fb7, v48
	v_add_f16_e32 v77, v77, v121
	v_add_f16_e32 v100, v112, v100
	v_mul_f16_e32 v112, 0xbbc4, v92
	v_mul_f16_e32 v86, 0xb5ac, v92
	;; [unrolled: 1-line block ×4, first 2 shown]
	v_sub_f16_e32 v37, v37, v111
	v_add_f16_e32 v78, v78, v82
	v_add_f16_sdwa v77, v77, v0 dst_sel:DWORD dst_unused:UNUSED_PAD src0_sel:DWORD src1_sel:WORD_1
	v_mul_f16_e32 v107, 0xb9fd, v94
	v_add_f16_e32 v24, v37, v24
	v_mul_f16_e32 v37, 0x3b15, v94
	v_mul_f16_e32 v82, 0x2fb7, v94
	;; [unrolled: 1-line block ×3, first 2 shown]
	v_add_f16_e32 v77, v78, v77
	v_add_f16_e32 v89, v89, v92
	v_sub_f16_e32 v19, v118, v19
	v_mul_f16_e32 v87, 0x3b15, v38
	v_add_f16_e32 v77, v89, v77
	v_add_f16_e32 v94, v96, v94
	v_add_f16_e32 v19, v19, v0
	v_sub_f16_e32 v20, v101, v20
	v_mul_f16_e32 v121, 0x2fb7, v41
	v_add_f16_e32 v77, v94, v77
	v_mul_f16_e32 v94, 0x3b15, v99
	v_sub_f16_e32 v21, v120, v21
	v_add_f16_e32 v19, v20, v19
	v_sub_f16_e32 v20, v87, v23
	v_add_f16_e32 v94, v103, v94
	v_mul_f16_e32 v103, 0xbbc4, v44
	v_sub_f16_e32 v22, v109, v22
	v_add_f16_e32 v21, v21, v0
	v_add_f16_e32 v19, v20, v19
	v_sub_f16_e32 v20, v121, v36
	v_add_f16_e32 v21, v22, v21
	v_mul_f16_e32 v22, 0x388b, v48
	v_add_f16_e32 v19, v20, v19
	v_sub_f16_e32 v20, v103, v40
	v_add_f16_e32 v19, v20, v19
	v_sub_f16_e32 v20, v22, v49
	v_add_f16_e32 v19, v20, v19
	v_add_f16_e32 v20, v57, v117
	v_add_f16_sdwa v20, v20, v0 dst_sel:DWORD dst_unused:UNUSED_PAD src0_sel:DWORD src1_sel:WORD_1
	v_add_f16_e32 v22, v59, v125
	v_add_f16_e32 v20, v22, v20
	;; [unrolled: 1-line block ×3, first 2 shown]
	v_mul_f16_e32 v96, 0x388b, v99
	v_add_f16_e32 v20, v22, v20
	v_add_f16_e32 v22, v75, v37
	v_mul_f16_e32 v109, 0xb9fd, v105
	v_add_f16_e32 v20, v22, v20
	v_add_f16_e32 v22, v84, v96
	;; [unrolled: 1-line block ×4, first 2 shown]
	v_alignbit_b32 v113, v0, v0, 16
	v_add_f16_e32 v20, v22, v20
	v_sub_f16_e32 v22, v116, v50
	v_mul_f16_e32 v110, 0x2fb7, v38
	v_add_f16_e32 v98, v100, v98
	v_mul_f16_e32 v100, 0xb5ac, v38
	v_mul_f16_e32 v38, 0x388b, v38
	v_add_f16_e32 v22, v22, v0
	v_sub_f16_e32 v23, v124, v51
	v_pk_add_f16 v1, v1, v113 op_sel:[0,1] op_sel_hi:[1,0]
	v_mul_f16_e32 v104, 0xb5ac, v41
	v_mul_f16_e32 v111, 0x3b15, v41
	;; [unrolled: 1-line block ×3, first 2 shown]
	v_sub_f16_e32 v35, v38, v35
	v_add_f16_e32 v22, v23, v22
	v_sub_f16_e32 v23, v100, v66
	v_pk_add_f16 v1, v15, v1
	v_mul_f16_e32 v78, 0xb9fd, v44
	v_mul_f16_e32 v89, 0x388b, v44
	;; [unrolled: 1-line block ×3, first 2 shown]
	v_add_f16_e32 v77, v94, v77
	v_mul_f16_e32 v94, 0xb5ac, v105
	v_add_f16_e32 v21, v35, v21
	v_sub_f16_e32 v35, v41, v39
	v_add_f16_e32 v22, v23, v22
	v_sub_f16_e32 v23, v111, v72
	v_pk_add_f16 v1, v16, v1
	v_add_f16_e32 v94, v108, v94
	v_mul_f16_e32 v108, 0xbbc4, v48
	v_mul_f16_e32 v120, 0xb9fd, v48
	;; [unrolled: 1-line block ×3, first 2 shown]
	v_add_f16_e32 v21, v35, v21
	v_sub_f16_e32 v35, v44, v45
	v_add_f16_e32 v22, v23, v22
	v_sub_f16_e32 v23, v89, v81
	v_pk_add_f16 v1, v8, v1
	v_add_f16_e32 v21, v35, v21
	v_sub_f16_e32 v35, v48, v58
	v_add_f16_e32 v22, v23, v22
	v_sub_f16_e32 v23, v120, v90
	v_pk_add_f16 v1, v9, v1
	v_add_f16_e32 v21, v35, v21
	v_add_f16_e32 v35, v64, v119
	v_add_f16_e32 v22, v23, v22
	v_add_f16_e32 v23, v46, v115
	v_sub_f16_e32 v42, v114, v42
	v_pk_add_f16 v1, v6, v1
	v_add_f16_sdwa v35, v35, v0 dst_sel:DWORD dst_unused:UNUSED_PAD src0_sel:DWORD src1_sel:WORD_1
	v_add_f16_sdwa v23, v23, v0 dst_sel:DWORD dst_unused:UNUSED_PAD src0_sel:DWORD src1_sel:WORD_1
	v_add_f16_e32 v36, v47, v123
	v_add_f16_e32 v0, v42, v0
	v_sub_f16_e32 v42, v122, v43
	v_pk_add_f16 v1, v7, v1
	v_add_f16_e32 v23, v36, v23
	v_add_f16_e32 v36, v60, v112
	;; [unrolled: 1-line block ×3, first 2 shown]
	v_sub_f16_e32 v42, v110, v54
	v_pk_add_f16 v1, v2, v1
	v_mul_f16_e32 v92, 0x2fb7, v99
	v_add_f16_e32 v38, v65, v106
	v_add_f16_e32 v23, v36, v23
	;; [unrolled: 1-line block ×4, first 2 shown]
	v_sub_f16_e32 v42, v104, v61
	v_pk_add_f16 v1, v3, v1
	v_add_f16_e32 v77, v94, v77
	v_mul_f16_e32 v94, 0x3b15, v105
	v_add_f16_e32 v35, v38, v35
	v_add_f16_e32 v38, v74, v97
	;; [unrolled: 1-line block ×5, first 2 shown]
	v_sub_f16_e32 v42, v78, v69
	v_pk_add_f16 v1, v4, v1
	v_mul_f16_e32 v99, 0xbbc4, v99
	v_add_f16_e32 v35, v38, v35
	v_add_f16_e32 v38, v83, v82
	;; [unrolled: 1-line block ×4, first 2 shown]
	s_mov_b32 s8, 0xffff
	v_add_f16_e32 v0, v42, v0
	v_sub_f16_e32 v42, v108, v76
	v_pk_add_f16 v1, v5, v1
	v_mul_f16_e32 v105, 0x388b, v105
	v_add_f16_e32 v35, v38, v35
	v_add_f16_e32 v38, v93, v99
	;; [unrolled: 1-line block ×3, first 2 shown]
	v_bfi_b32 v36, s8, v53, v52
	v_add_f16_e32 v0, v42, v0
	v_lshlrev_b32_e32 v42, 2, v28
	v_pk_add_f16 v1, v17, v1
	v_add_f16_e32 v35, v38, v35
	v_add_f16_e32 v38, v102, v105
	v_bfi_b32 v37, s8, v56, v55
	ds_write_b32 v42, v1
	v_pk_add_f16 v1, v36, v113
	v_add_f16_e32 v35, v38, v35
	v_bfi_b32 v38, s8, v63, v62
	v_pk_add_f16 v1, v37, v1
	v_bfi_b32 v39, s8, v71, v70
	v_pk_add_f16 v1, v38, v1
	;; [unrolled: 2-line block ×4, first 2 shown]
	v_pk_add_f16 v1, v41, v1
	v_alignbit_b32 v2, v23, v1, 16
	v_pack_b32_f16 v0, v0, v1
	ds_write2_b32 v42, v0, v2 offset0:1 offset1:2
	v_pack_b32_f16 v0, v19, v35
	v_pack_b32_f16 v1, v22, v20
	ds_write2_b32 v42, v1, v0 offset0:3 offset1:4
	v_pack_b32_f16 v0, v24, v98
	v_pack_b32_f16 v1, v21, v77
	s_mov_b32 s8, 0x5040100
	ds_write2_b32 v42, v1, v0 offset0:5 offset1:6
	v_perm_b32 v0, v33, v11, s8
	v_perm_b32 v1, v25, v18, s8
	ds_write2_b32 v42, v1, v0 offset0:7 offset1:8
	v_perm_b32 v0, v31, v13, s8
	v_perm_b32 v1, v32, v12, s8
	ds_write2_b32 v42, v1, v0 offset0:9 offset1:10
	v_perm_b32 v0, v34, v29, s8
	v_perm_b32 v1, v30, v14, s8
	ds_write2_b32 v42, v1, v0 offset0:11 offset1:12
.LBB0_7:
	s_or_b64 exec, exec, s[4:5]
	s_load_dwordx4 s[8:11], s[0:1], 0x0
	s_movk_i32 s0, 0x4f
	v_mul_lo_u16_sdwa v0, v27, s0 dst_sel:DWORD dst_unused:UNUSED_PAD src0_sel:BYTE_0 src1_sel:DWORD
	v_lshrrev_b16_e32 v21, 10, v0
	v_mul_lo_u16_e32 v0, 13, v21
	v_sub_u16_e32 v0, v27, v0
	v_and_b32_e32 v22, 0xff, v0
	v_mul_u32_u24_e32 v0, 6, v22
	v_lshlrev_b32_e32 v4, 2, v0
	s_waitcnt lgkmcnt(0)
	; wave barrier
	s_waitcnt lgkmcnt(0)
	global_load_dwordx4 v[0:3], v4, s[2:3]
	global_load_dwordx2 v[15:16], v4, s[2:3] offset:16
	v_add_u32_e32 v44, 0x200, v26
	ds_read2_b32 v[4:5], v26 offset1:52
	ds_read2_b32 v[6:7], v26 offset0:104 offset1:156
	ds_read_b32 v17, v26 offset:1248
	ds_read2_b32 v[8:9], v44 offset0:80 offset1:132
	s_movk_i32 s0, 0x2b26
	s_waitcnt lgkmcnt(3)
	v_lshrrev_b32_e32 v19, 16, v5
	s_waitcnt lgkmcnt(2)
	v_lshrrev_b32_e32 v20, 16, v6
	v_lshrrev_b32_e32 v23, 16, v7
	s_waitcnt lgkmcnt(1)
	v_lshrrev_b32_e32 v24, 16, v17
	s_waitcnt lgkmcnt(0)
	v_lshrrev_b32_e32 v35, 16, v8
	v_lshrrev_b32_e32 v36, 16, v9
	s_movk_i32 s1, 0x3b00
	s_mov_b32 s4, 0xbcab
	s_waitcnt lgkmcnt(0)
	; wave barrier
	s_waitcnt vmcnt(1)
	v_mul_f16_sdwa v37, v19, v0 dst_sel:DWORD dst_unused:UNUSED_PAD src0_sel:DWORD src1_sel:WORD_1
	v_mul_f16_sdwa v38, v5, v0 dst_sel:DWORD dst_unused:UNUSED_PAD src0_sel:DWORD src1_sel:WORD_1
	v_mul_f16_sdwa v39, v20, v1 dst_sel:DWORD dst_unused:UNUSED_PAD src0_sel:DWORD src1_sel:WORD_1
	v_mul_f16_sdwa v40, v6, v1 dst_sel:DWORD dst_unused:UNUSED_PAD src0_sel:DWORD src1_sel:WORD_1
	v_mul_f16_sdwa v41, v23, v2 dst_sel:DWORD dst_unused:UNUSED_PAD src0_sel:DWORD src1_sel:WORD_1
	v_mul_f16_sdwa v42, v7, v2 dst_sel:DWORD dst_unused:UNUSED_PAD src0_sel:DWORD src1_sel:WORD_1
	v_mul_f16_sdwa v43, v35, v3 dst_sel:DWORD dst_unused:UNUSED_PAD src0_sel:DWORD src1_sel:WORD_1
	v_mul_f16_sdwa v45, v8, v3 dst_sel:DWORD dst_unused:UNUSED_PAD src0_sel:DWORD src1_sel:WORD_1
	s_waitcnt vmcnt(0)
	v_mul_f16_sdwa v46, v36, v15 dst_sel:DWORD dst_unused:UNUSED_PAD src0_sel:DWORD src1_sel:WORD_1
	v_mul_f16_sdwa v47, v9, v15 dst_sel:DWORD dst_unused:UNUSED_PAD src0_sel:DWORD src1_sel:WORD_1
	;; [unrolled: 1-line block ×4, first 2 shown]
	v_fma_f16 v5, v5, v0, -v37
	v_fma_f16 v19, v19, v0, v38
	v_fma_f16 v6, v6, v1, -v39
	v_fma_f16 v20, v20, v1, v40
	;; [unrolled: 2-line block ×6, first 2 shown]
	v_add_f16_e32 v37, v5, v17
	v_add_f16_e32 v38, v19, v24
	v_sub_f16_e32 v5, v5, v17
	v_sub_f16_e32 v17, v19, v24
	v_add_f16_e32 v19, v6, v9
	v_add_f16_e32 v24, v20, v36
	v_sub_f16_e32 v6, v6, v9
	v_sub_f16_e32 v9, v20, v36
	;; [unrolled: 4-line block ×4, first 2 shown]
	v_sub_f16_e32 v37, v37, v20
	v_sub_f16_e32 v38, v38, v36
	;; [unrolled: 1-line block ×4, first 2 shown]
	v_add_f16_e32 v20, v20, v23
	v_add_f16_e32 v23, v36, v35
	v_mul_f16_e32 v35, 0x3a52, v37
	v_mul_f16_e32 v36, 0x3a52, v38
	;; [unrolled: 1-line block ×4, first 2 shown]
	v_fma_f16 v19, v19, s0, v35
	v_fma_f16 v24, v24, s0, v36
	s_movk_i32 s0, 0x39e0
	v_add_f16_e32 v41, v7, v6
	v_add_f16_e32 v42, v8, v9
	v_sub_f16_e32 v43, v7, v6
	v_sub_f16_e32 v45, v8, v9
	v_fma_f16 v37, v39, s0, -v37
	v_fma_f16 v38, v40, s0, -v38
	s_mov_b32 s0, 0xb9e0
	v_sub_f16_e32 v7, v5, v7
	v_sub_f16_e32 v8, v17, v8
	v_sub_f16_e32 v6, v6, v5
	v_sub_f16_e32 v9, v9, v17
	v_add_f16_e32 v5, v41, v5
	v_add_f16_e32 v17, v42, v17
	v_mul_f16_e32 v41, 0xb846, v43
	v_mul_f16_e32 v42, 0xb846, v45
	v_fma_f16 v35, v39, s0, -v35
	v_fma_f16 v36, v40, s0, -v36
	s_movk_i32 s0, 0x3574
	v_mul_f16_e32 v43, 0x3b00, v6
	v_mul_f16_e32 v45, 0x3b00, v9
	v_add_f16_e32 v46, v4, v20
	v_add_f16_sdwa v4, v4, v23 dst_sel:DWORD dst_unused:UNUSED_PAD src0_sel:WORD_1 src1_sel:DWORD
	v_fma_f16 v39, v7, s0, v41
	v_fma_f16 v40, v8, s0, v42
	s_mov_b32 s0, 0xb574
	v_fma_f16 v20, v20, s4, v46
	v_fma_f16 v23, v23, s4, v4
	v_fma_f16 v6, v6, s1, -v41
	v_fma_f16 v7, v7, s0, -v43
	;; [unrolled: 1-line block ×3, first 2 shown]
	s_movk_i32 s0, 0x370e
	v_fma_f16 v9, v9, s1, -v42
	v_add_f16_e32 v41, v19, v20
	v_add_f16_e32 v24, v24, v23
	;; [unrolled: 1-line block ×6, first 2 shown]
	v_fma_f16 v35, v5, s0, v39
	v_fma_f16 v38, v17, s0, v40
	;; [unrolled: 1-line block ×6, first 2 shown]
	v_add_f16_e32 v8, v38, v41
	v_sub_f16_e32 v39, v24, v35
	v_sub_f16_e32 v42, v23, v5
	v_add_f16_e32 v45, v6, v37
	v_sub_f16_e32 v36, v37, v6
	v_add_f16_e32 v37, v5, v23
	v_mul_u32_u24_e32 v5, 0x5b, v21
	v_add_f16_e32 v40, v7, v20
	v_sub_f16_e32 v43, v19, v9
	v_sub_f16_e32 v17, v41, v38
	v_add_f16_e32 v38, v35, v24
	v_add_lshl_u32 v35, v5, v22, 2
	v_pack_b32_f16 v4, v46, v4
	v_pack_b32_f16 v5, v8, v39
	v_add_f16_e32 v19, v9, v19
	v_sub_f16_e32 v20, v20, v7
	ds_write2_b32 v35, v4, v5 offset1:13
	v_pack_b32_f16 v4, v40, v42
	v_pack_b32_f16 v5, v43, v45
	ds_write2_b32 v35, v4, v5 offset0:26 offset1:39
	v_pack_b32_f16 v4, v19, v36
	v_pack_b32_f16 v5, v20, v37
	ds_write2_b32 v35, v4, v5 offset0:52 offset1:65
	v_pack_b32_f16 v4, v17, v38
	ds_write_b32 v35, v4 offset:312
	s_waitcnt lgkmcnt(0)
	; wave barrier
	s_waitcnt lgkmcnt(0)
	ds_read2_b32 v[21:22], v26 offset1:91
	ds_read2_b32 v[23:24], v44 offset0:54 offset1:145
	v_cmp_gt_u16_e64 s[0:1], 39, v27
	s_and_saveexec_b64 s[4:5], s[0:1]
	s_cbranch_execz .LBB0_9
; %bb.8:
	ds_read2_b32 v[19:20], v26 offset0:52 offset1:143
	ds_read2_b32 v[17:18], v44 offset0:106 offset1:197
	s_waitcnt lgkmcnt(1)
	v_lshrrev_b32_e32 v36, 16, v19
	v_lshrrev_b32_e32 v37, 16, v20
	s_waitcnt lgkmcnt(0)
	v_lshrrev_b32_e32 v38, 16, v17
	v_lshrrev_b32_e32 v25, 16, v18
.LBB0_9:
	s_or_b64 exec, exec, s[4:5]
	v_mad_u64_u32 v[4:5], s[4:5], v27, 12, s[2:3]
	v_add_u32_e32 v6, 52, v27
	v_subrev_u32_e32 v39, 39, v27
	global_load_dwordx3 v[7:9], v[4:5], off offset:312
	v_cndmask_b32_e64 v4, v39, v6, s[0:1]
	v_mul_hi_i32_i24_e32 v5, 12, v4
	v_mul_i32_i24_e32 v4, 12, v4
	v_mov_b32_e32 v6, s3
	v_add_co_u32_e64 v4, s[2:3], s2, v4
	v_addc_co_u32_e64 v5, s[2:3], v6, v5, s[2:3]
	global_load_dwordx3 v[4:6], v[4:5], off offset:312
	s_waitcnt lgkmcnt(1)
	v_lshrrev_b32_e32 v40, 16, v22
	s_waitcnt lgkmcnt(0)
	v_lshrrev_b32_e32 v41, 16, v23
	v_lshrrev_b32_e32 v42, 16, v24
	;; [unrolled: 1-line block ×3, first 2 shown]
	s_waitcnt vmcnt(1)
	v_mul_f16_sdwa v43, v40, v7 dst_sel:DWORD dst_unused:UNUSED_PAD src0_sel:DWORD src1_sel:WORD_1
	v_mul_f16_sdwa v45, v22, v7 dst_sel:DWORD dst_unused:UNUSED_PAD src0_sel:DWORD src1_sel:WORD_1
	;; [unrolled: 1-line block ×6, first 2 shown]
	v_fma_f16 v22, v22, v7, -v43
	v_fma_f16 v40, v40, v7, v45
	v_fma_f16 v23, v23, v8, -v46
	s_waitcnt vmcnt(0)
	v_mul_f16_sdwa v50, v37, v4 dst_sel:DWORD dst_unused:UNUSED_PAD src0_sel:DWORD src1_sel:WORD_1
	v_mul_f16_sdwa v51, v20, v4 dst_sel:DWORD dst_unused:UNUSED_PAD src0_sel:DWORD src1_sel:WORD_1
	;; [unrolled: 1-line block ×6, first 2 shown]
	v_fma_f16 v41, v41, v8, v47
	v_fma_f16 v24, v24, v9, -v48
	v_fma_f16 v42, v42, v9, v49
	v_fma_f16 v43, v20, v4, -v50
	v_fma_f16 v45, v37, v4, v51
	v_fma_f16 v17, v17, v5, -v52
	v_fma_f16 v20, v38, v5, v53
	v_fma_f16 v18, v18, v6, -v54
	v_fma_f16 v25, v25, v6, v55
	v_sub_f16_e32 v23, v21, v23
	v_sub_f16_e32 v41, v39, v41
	;; [unrolled: 1-line block ×8, first 2 shown]
	v_fma_f16 v47, v21, 2.0, -v23
	v_fma_f16 v48, v39, 2.0, -v41
	v_fma_f16 v21, v22, 2.0, -v24
	v_fma_f16 v38, v40, 2.0, -v37
	v_sub_f16_e32 v20, v23, v37
	v_add_f16_e32 v37, v41, v24
	v_fma_f16 v49, v19, 2.0, -v17
	v_fma_f16 v50, v36, 2.0, -v46
	v_fma_f16 v24, v43, 2.0, -v18
	v_fma_f16 v36, v45, 2.0, -v25
	v_sub_f16_e32 v22, v17, v25
	v_sub_f16_e32 v19, v47, v21
	;; [unrolled: 1-line block ×3, first 2 shown]
	v_add_f16_e32 v42, v46, v18
	v_fma_f16 v18, v23, 2.0, -v20
	v_fma_f16 v39, v41, 2.0, -v37
	v_sub_f16_e32 v21, v49, v24
	v_sub_f16_e32 v40, v50, v36
	v_fma_f16 v24, v17, 2.0, -v22
	v_fma_f16 v17, v47, 2.0, -v19
	;; [unrolled: 1-line block ×6, first 2 shown]
	v_pack_b32_f16 v45, v18, v39
	v_pack_b32_f16 v47, v17, v36
	;; [unrolled: 1-line block ×4, first 2 shown]
	ds_write2_b32 v26, v47, v45 offset1:91
	ds_write2_b32 v44, v46, v25 offset0:54 offset1:145
	s_and_saveexec_b64 s[2:3], s[0:1]
	s_cbranch_execz .LBB0_11
; %bb.10:
	s_mov_b32 s4, 0x5040100
	v_perm_b32 v25, v43, v23, s4
	v_perm_b32 v44, v41, v24, s4
	ds_write2_b32 v26, v25, v44 offset0:52 offset1:143
	v_perm_b32 v25, v40, v21, s4
	v_perm_b32 v44, v42, v22, s4
	v_add_u32_e32 v45, 0x200, v26
	ds_write2_b32 v45, v25, v44 offset0:106 offset1:197
.LBB0_11:
	s_or_b64 exec, exec, s[2:3]
	s_waitcnt lgkmcnt(0)
	; wave barrier
	s_waitcnt lgkmcnt(0)
	s_and_saveexec_b64 s[2:3], vcc
	s_cbranch_execz .LBB0_13
; %bb.12:
	global_load_dword v25, v26, s[6:7] offset:1456
	s_add_u32 s4, s6, 0x5b0
	s_addc_u32 s5, s7, 0
	global_load_dword v56, v26, s[4:5] offset:112
	global_load_dword v57, v26, s[4:5] offset:224
	global_load_dword v58, v26, s[4:5] offset:336
	global_load_dword v59, v26, s[4:5] offset:448
	global_load_dword v60, v26, s[4:5] offset:560
	global_load_dword v61, v26, s[4:5] offset:672
	global_load_dword v62, v26, s[4:5] offset:784
	global_load_dword v63, v26, s[4:5] offset:896
	global_load_dword v64, v26, s[4:5] offset:1008
	global_load_dword v65, v26, s[4:5] offset:1120
	ds_read_b32 v44, v26
	global_load_dword v68, v26, s[4:5] offset:1232
	global_load_dword v69, v26, s[4:5] offset:1344
	v_add_u32_e32 v66, 0x200, v26
	v_add_u32_e32 v67, 0x400, v26
	s_waitcnt lgkmcnt(0)
	v_lshrrev_b32_e32 v45, 16, v44
	s_waitcnt vmcnt(12)
	v_mul_f16_sdwa v46, v45, v25 dst_sel:DWORD dst_unused:UNUSED_PAD src0_sel:DWORD src1_sel:WORD_1
	v_mul_f16_sdwa v47, v44, v25 dst_sel:DWORD dst_unused:UNUSED_PAD src0_sel:DWORD src1_sel:WORD_1
	v_fma_f16 v44, v44, v25, -v46
	v_fma_f16 v25, v45, v25, v47
	v_pack_b32_f16 v25, v44, v25
	ds_write_b32 v26, v25
	ds_read2_b32 v[44:45], v26 offset0:28 offset1:56
	ds_read2_b32 v[46:47], v26 offset0:84 offset1:112
	;; [unrolled: 1-line block ×6, first 2 shown]
	s_waitcnt lgkmcnt(5)
	v_lshrrev_b32_e32 v25, 16, v44
	s_waitcnt vmcnt(11)
	v_mul_f16_sdwa v70, v44, v56 dst_sel:DWORD dst_unused:UNUSED_PAD src0_sel:DWORD src1_sel:WORD_1
	v_lshrrev_b32_e32 v71, 16, v45
	s_waitcnt vmcnt(10)
	v_mul_f16_sdwa v72, v45, v57 dst_sel:DWORD dst_unused:UNUSED_PAD src0_sel:DWORD src1_sel:WORD_1
	s_waitcnt lgkmcnt(4)
	v_lshrrev_b32_e32 v73, 16, v46
	s_waitcnt vmcnt(9)
	v_mul_f16_sdwa v74, v46, v58 dst_sel:DWORD dst_unused:UNUSED_PAD src0_sel:DWORD src1_sel:WORD_1
	v_lshrrev_b32_e32 v75, 16, v47
	s_waitcnt vmcnt(8)
	v_mul_f16_sdwa v76, v47, v59 dst_sel:DWORD dst_unused:UNUSED_PAD src0_sel:DWORD src1_sel:WORD_1
	s_waitcnt lgkmcnt(3)
	v_lshrrev_b32_e32 v77, 16, v48
	s_waitcnt vmcnt(7)
	v_mul_f16_sdwa v78, v48, v60 dst_sel:DWORD dst_unused:UNUSED_PAD src0_sel:DWORD src1_sel:WORD_1
	v_lshrrev_b32_e32 v79, 16, v49
	s_waitcnt vmcnt(6)
	v_mul_f16_sdwa v80, v49, v61 dst_sel:DWORD dst_unused:UNUSED_PAD src0_sel:DWORD src1_sel:WORD_1
	s_waitcnt lgkmcnt(2)
	v_lshrrev_b32_e32 v81, 16, v50
	s_waitcnt vmcnt(5)
	v_mul_f16_sdwa v82, v50, v62 dst_sel:DWORD dst_unused:UNUSED_PAD src0_sel:DWORD src1_sel:WORD_1
	v_lshrrev_b32_e32 v83, 16, v51
	s_waitcnt vmcnt(4)
	v_mul_f16_sdwa v84, v51, v63 dst_sel:DWORD dst_unused:UNUSED_PAD src0_sel:DWORD src1_sel:WORD_1
	s_waitcnt lgkmcnt(1)
	v_lshrrev_b32_e32 v85, 16, v52
	s_waitcnt vmcnt(3)
	v_mul_f16_sdwa v86, v52, v64 dst_sel:DWORD dst_unused:UNUSED_PAD src0_sel:DWORD src1_sel:WORD_1
	v_lshrrev_b32_e32 v87, 16, v53
	v_mul_f16_sdwa v89, v25, v56 dst_sel:DWORD dst_unused:UNUSED_PAD src0_sel:DWORD src1_sel:WORD_1
	v_fma_f16 v25, v25, v56, v70
	v_mul_f16_sdwa v70, v71, v57 dst_sel:DWORD dst_unused:UNUSED_PAD src0_sel:DWORD src1_sel:WORD_1
	s_waitcnt vmcnt(2)
	v_mul_f16_sdwa v88, v53, v65 dst_sel:DWORD dst_unused:UNUSED_PAD src0_sel:DWORD src1_sel:WORD_1
	v_fma_f16 v71, v71, v57, v72
	v_mul_f16_sdwa v72, v73, v58 dst_sel:DWORD dst_unused:UNUSED_PAD src0_sel:DWORD src1_sel:WORD_1
	v_fma_f16 v73, v73, v58, v74
	;; [unrolled: 2-line block ×8, first 2 shown]
	v_mul_f16_sdwa v86, v87, v65 dst_sel:DWORD dst_unused:UNUSED_PAD src0_sel:DWORD src1_sel:WORD_1
	v_fma_f16 v44, v44, v56, -v89
	v_fma_f16 v45, v45, v57, -v70
	v_fma_f16 v87, v87, v65, v88
	v_fma_f16 v46, v46, v58, -v72
	v_fma_f16 v47, v47, v59, -v74
	;; [unrolled: 1-line block ×8, first 2 shown]
	v_pack_b32_f16 v25, v44, v25
	v_pack_b32_f16 v44, v45, v71
	;; [unrolled: 1-line block ×9, first 2 shown]
	ds_write2_b32 v26, v25, v44 offset0:28 offset1:56
	ds_write2_b32 v26, v45, v46 offset0:84 offset1:112
	;; [unrolled: 1-line block ×4, first 2 shown]
	v_pack_b32_f16 v25, v53, v87
	ds_write2_b32 v66, v51, v25 offset0:124 offset1:152
	s_waitcnt lgkmcnt(5)
	v_lshrrev_b32_e32 v25, 16, v54
	s_waitcnt vmcnt(1)
	v_mul_f16_sdwa v44, v25, v68 dst_sel:DWORD dst_unused:UNUSED_PAD src0_sel:DWORD src1_sel:WORD_1
	v_mul_f16_sdwa v45, v54, v68 dst_sel:DWORD dst_unused:UNUSED_PAD src0_sel:DWORD src1_sel:WORD_1
	v_fma_f16 v44, v54, v68, -v44
	v_fma_f16 v25, v25, v68, v45
	v_pack_b32_f16 v25, v44, v25
	v_lshrrev_b32_e32 v44, 16, v55
	s_waitcnt vmcnt(0)
	v_mul_f16_sdwa v45, v44, v69 dst_sel:DWORD dst_unused:UNUSED_PAD src0_sel:DWORD src1_sel:WORD_1
	v_mul_f16_sdwa v46, v55, v69 dst_sel:DWORD dst_unused:UNUSED_PAD src0_sel:DWORD src1_sel:WORD_1
	v_fma_f16 v45, v55, v69, -v45
	v_fma_f16 v44, v44, v69, v46
	v_pack_b32_f16 v44, v45, v44
	ds_write2_b32 v67, v25, v44 offset0:52 offset1:80
.LBB0_13:
	s_or_b64 exec, exec, s[2:3]
	s_waitcnt lgkmcnt(0)
	; wave barrier
	s_waitcnt lgkmcnt(0)
	s_and_saveexec_b64 s[2:3], vcc
	s_cbranch_execz .LBB0_15
; %bb.14:
	v_add_u32_e32 v13, 0x400, v26
	ds_read2_b32 v[17:18], v26 offset1:28
	ds_read2_b32 v[19:20], v26 offset0:56 offset1:84
	ds_read2_b32 v[23:24], v26 offset0:112 offset1:140
	;; [unrolled: 1-line block ×5, first 2 shown]
	ds_read_b32 v29, v26 offset:1344
	s_waitcnt lgkmcnt(6)
	v_lshrrev_b32_e32 v36, 16, v17
	v_lshrrev_b32_e32 v39, 16, v18
	s_waitcnt lgkmcnt(5)
	v_lshrrev_b32_e32 v38, 16, v19
	v_lshrrev_b32_e32 v37, 16, v20
	;; [unrolled: 3-line block ×6, first 2 shown]
	s_waitcnt lgkmcnt(0)
	v_lshrrev_b32_e32 v34, 16, v29
.LBB0_15:
	s_or_b64 exec, exec, s[2:3]
	v_sub_f16_e32 v57, v39, v34
	v_add_f16_e32 v45, v29, v18
	v_add_f16_e32 v59, v34, v39
	s_mov_b32 s4, 0xbbc4
	v_mul_f16_e32 v69, 0xb3a8, v57
	v_sub_f16_e32 v58, v38, v30
	v_sub_f16_e32 v47, v18, v29
	s_mov_b32 s5, 0xb3a8
	v_mul_f16_e32 v71, 0xbbc4, v59
	v_fma_f16 v25, v45, s4, -v69
	v_add_f16_e32 v46, v14, v19
	v_add_f16_e32 v61, v30, v38
	v_mul_f16_e32 v70, 0x3770, v58
	v_add_f16_e32 v25, v17, v25
	v_fma_f16 v44, v47, s5, v71
	v_sub_f16_e32 v49, v19, v14
	s_movk_i32 s18, 0x3770
	v_mul_f16_e32 v73, 0x3b15, v61
	v_fma_f16 v48, v46, s14, -v70
	v_add_f16_e32 v44, v36, v44
	v_add_f16_e32 v25, v48, v25
	v_fma_f16 v48, v49, s18, v73
	v_sub_f16_e32 v60, v37, v31
	v_add_f16_e32 v44, v48, v44
	v_add_f16_e32 v48, v13, v20
	;; [unrolled: 1-line block ×3, first 2 shown]
	s_mov_b32 s15, 0xb9fd
	v_mul_f16_e32 v72, 0xb94e, v60
	v_sub_f16_e32 v51, v20, v13
	s_mov_b32 s16, 0xb94e
	v_mul_f16_e32 v75, 0xb9fd, v63
	v_fma_f16 v50, v48, s15, -v72
	v_add_f16_e32 v25, v50, v25
	v_fma_f16 v50, v51, s16, v75
	v_sub_f16_e32 v62, v43, v32
	v_add_f16_e32 v44, v50, v44
	v_add_f16_e32 v50, v12, v23
	;; [unrolled: 1-line block ×3, first 2 shown]
	s_movk_i32 s17, 0x388b
	v_mul_f16_e32 v74, 0x3a95, v62
	v_sub_f16_e32 v53, v23, v12
	s_movk_i32 s23, 0x3a95
	v_mul_f16_e32 v77, 0x388b, v65
	v_fma_f16 v52, v50, s17, -v74
	v_add_f16_e32 v25, v52, v25
	v_fma_f16 v52, v53, s23, v77
	v_sub_f16_e32 v64, v41, v33
	v_add_f16_e32 v44, v52, v44
	v_add_f16_e32 v52, v11, v24
	;; [unrolled: 1-line block ×3, first 2 shown]
	s_mov_b32 s19, 0xb5ac
	v_mul_f16_e32 v76, 0xbb7b, v64
	v_sub_f16_e32 v55, v24, v11
	s_mov_b32 s20, 0xbb7b
	v_mul_f16_e32 v79, 0xb5ac, v67
	v_fma_f16 v54, v52, s19, -v76
	v_add_f16_e32 v25, v54, v25
	v_fma_f16 v54, v55, s20, v79
	v_sub_f16_e32 v66, v40, v42
	v_add_f16_e32 v44, v54, v44
	v_add_f16_e32 v54, v22, v21
	;; [unrolled: 1-line block ×3, first 2 shown]
	s_movk_i32 s21, 0x2fb7
	v_mul_f16_e32 v78, 0x3bf1, v66
	v_sub_f16_e32 v56, v21, v22
	s_movk_i32 s22, 0x3bf1
	v_mul_f16_e32 v80, 0x2fb7, v68
	v_fma_f16 v81, v54, s21, -v78
	v_add_f16_e32 v25, v81, v25
	v_fma_f16 v81, v56, s22, v80
	v_add_f16_e32 v44, v81, v44
	s_waitcnt lgkmcnt(0)
	; wave barrier
	s_and_saveexec_b64 s[2:3], vcc
	s_cbranch_execz .LBB0_17
; %bb.16:
	v_mul_f16_e32 v81, 0xbbc4, v45
	v_mul_f16_e32 v82, 0xb3a8, v47
	;; [unrolled: 1-line block ×3, first 2 shown]
	v_add_f16_e32 v69, v81, v69
	v_mul_f16_e32 v84, 0x3770, v49
	v_mul_f16_e32 v85, 0xb9fd, v48
	v_sub_f16_e32 v71, v71, v82
	v_add_f16_e32 v69, v17, v69
	v_add_f16_e32 v70, v83, v70
	v_mul_f16_e32 v86, 0xb94e, v51
	v_mul_f16_e32 v87, 0x388b, v50
	v_add_f16_e32 v71, v36, v71
	v_sub_f16_e32 v73, v73, v84
	v_add_f16_e32 v69, v70, v69
	v_add_f16_e32 v70, v85, v72
	v_mul_f16_e32 v88, 0x3a95, v53
	v_mul_f16_e32 v89, 0xb5ac, v52
	v_add_f16_e32 v71, v73, v71
	;; [unrolled: 6-line block ×3, first 2 shown]
	v_sub_f16_e32 v73, v77, v88
	v_add_f16_e32 v69, v70, v69
	v_add_f16_e32 v70, v89, v76
	v_mul_f16_e32 v92, 0x3bf1, v56
	v_add_f16_e32 v71, v73, v71
	v_sub_f16_e32 v73, v79, v90
	v_add_f16_e32 v69, v70, v69
	v_add_f16_e32 v70, v91, v78
	v_add_f16_e32 v71, v73, v71
	v_sub_f16_e32 v73, v80, v92
	v_add_f16_e32 v69, v70, v69
	v_mul_f16_e32 v70, 0xb9fd, v59
	s_movk_i32 s26, 0x394e
	v_add_f16_e32 v71, v73, v71
	v_fma_f16 v72, v47, s26, v70
	v_mul_f16_e32 v73, 0x2fb7, v61
	s_mov_b32 s24, 0xbbf1
	v_add_f16_e32 v72, v36, v72
	v_fma_f16 v74, v49, s24, v73
	v_add_f16_e32 v72, v74, v72
	v_mul_f16_e32 v74, 0x388b, v63
	v_fma_f16 v75, v51, s23, v74
	v_add_f16_e32 v72, v75, v72
	v_mul_f16_e32 v75, 0xbbc4, v65
	v_fma_f16 v76, v53, s5, v75
	v_add_f16_e32 v72, v76, v72
	v_mul_f16_e32 v76, 0x3b15, v67
	s_mov_b32 s25, 0xb770
	v_fma_f16 v77, v55, s25, v76
	v_add_f16_e32 v72, v77, v72
	v_mul_f16_e32 v77, 0xb5ac, v68
	s_movk_i32 s28, 0x3b7b
	v_fma_f16 v78, v56, s28, v77
	v_add_f16_e32 v72, v78, v72
	v_mul_f16_e32 v78, 0xb94e, v57
	v_fma_f16 v79, v45, s15, v78
	v_mul_f16_e32 v80, 0x3bf1, v58
	v_add_f16_e32 v79, v17, v79
	v_fma_f16 v81, v46, s21, v80
	v_add_f16_e32 v79, v81, v79
	v_mul_f16_e32 v81, 0xba95, v60
	v_fma_f16 v82, v48, s17, v81
	v_add_f16_e32 v79, v82, v79
	v_mul_f16_e32 v82, 0x33a8, v62
	;; [unrolled: 3-line block ×5, first 2 shown]
	v_fma_f16 v86, v47, s28, v85
	v_mul_f16_e32 v87, 0xb9fd, v61
	v_add_f16_e32 v86, v36, v86
	v_fma_f16 v88, v49, s16, v87
	v_add_f16_e32 v86, v88, v86
	v_mul_f16_e32 v88, 0x3b15, v63
	v_fma_f16 v89, v51, s25, v88
	v_add_f16_e32 v86, v89, v86
	v_mul_f16_e32 v89, 0x2fb7, v65
	;; [unrolled: 3-line block ×3, first 2 shown]
	v_fma_f16 v91, v55, s5, v90
	s_mov_b32 s27, 0xba95
	v_add_f16_e32 v86, v91, v86
	v_mul_f16_e32 v91, 0x388b, v68
	v_fma_f16 v92, v56, s27, v91
	v_add_f16_e32 v18, v18, v17
	v_add_f16_e32 v86, v92, v86
	v_mul_f16_e32 v92, 0xbb7b, v57
	v_add_f16_e32 v18, v19, v18
	v_fma_f16 v93, v45, s19, v92
	v_mul_f16_e32 v94, 0x394e, v58
	v_add_f16_e32 v18, v20, v18
	v_add_f16_e32 v93, v17, v93
	v_fma_f16 v95, v46, s15, v94
	v_add_f16_e32 v18, v23, v18
	v_add_f16_e32 v93, v95, v93
	v_mul_f16_e32 v95, 0x3770, v60
	v_add_f16_e32 v18, v24, v18
	v_fma_f16 v96, v48, s14, v95
	v_add_f16_e32 v18, v21, v18
	v_add_f16_e32 v93, v96, v93
	v_mul_f16_e32 v96, 0xbbf1, v62
	;; [unrolled: 5-line block ×3, first 2 shown]
	v_add_f16_e32 v11, v12, v11
	v_fma_f16 v98, v52, s4, v97
	v_add_f16_e32 v11, v13, v11
	v_fma_f16 v13, v47, s16, v70
	v_add_f16_e32 v93, v98, v93
	v_mul_f16_e32 v98, 0x3a95, v66
	v_add_f16_e32 v11, v14, v11
	v_add_f16_e32 v13, v36, v13
	v_fma_f16 v14, v49, s22, v73
	s_movk_i32 s29, 0x33a8
	v_fma_f16 v99, v54, s17, v98
	v_add_f16_e32 v13, v14, v13
	v_fma_f16 v14, v51, s27, v74
	v_add_f16_e32 v93, v99, v93
	v_mul_f16_e32 v99, 0x2fb7, v59
	v_add_f16_e32 v13, v14, v13
	v_fma_f16 v14, v53, s29, v75
	v_fma_f16 v100, v47, s22, v99
	v_mul_f16_e32 v101, 0xbbc4, v61
	v_add_f16_e32 v13, v14, v13
	v_fma_f16 v14, v55, s18, v76
	v_add_f16_e32 v100, v36, v100
	v_fma_f16 v102, v49, s29, v101
	v_add_f16_e32 v13, v14, v13
	v_fma_f16 v14, v56, s20, v77
	v_add_f16_e32 v100, v102, v100
	v_mul_f16_e32 v102, 0xb5ac, v63
	v_add_f16_e32 v13, v14, v13
	v_fma_f16 v14, v45, s15, -v78
	v_fma_f16 v103, v51, s20, v102
	v_add_f16_e32 v14, v17, v14
	v_fma_f16 v18, v46, s21, -v80
	v_add_f16_e32 v100, v103, v100
	v_mul_f16_e32 v103, 0x3b15, v65
	v_add_f16_e32 v14, v18, v14
	v_fma_f16 v18, v48, s17, -v81
	v_fma_f16 v104, v53, s25, v103
	v_add_f16_e32 v14, v18, v14
	v_fma_f16 v18, v50, s4, -v82
	;; [unrolled: 7-line block ×3, first 2 shown]
	v_add_f16_e32 v100, v105, v100
	v_mul_f16_e32 v105, 0xb9fd, v68
	v_add_f16_e32 v14, v18, v14
	v_fma_f16 v18, v47, s20, v85
	v_fma_f16 v106, v56, s26, v105
	v_add_f16_e32 v18, v36, v18
	v_fma_f16 v19, v49, s26, v87
	v_add_f16_e32 v100, v106, v100
	v_mul_f16_e32 v106, 0xbbf1, v57
	v_add_f16_e32 v18, v19, v18
	v_fma_f16 v19, v51, s18, v88
	v_fma_f16 v107, v45, s21, v106
	v_mul_f16_e32 v108, 0xb3a8, v58
	v_add_f16_e32 v18, v19, v18
	v_fma_f16 v19, v53, s24, v89
	v_add_f16_e32 v107, v17, v107
	v_fma_f16 v109, v46, s4, v108
	;; [unrolled: 2-line block ×3, first 2 shown]
	v_add_f16_e32 v107, v109, v107
	v_mul_f16_e32 v109, 0x3b7b, v60
	v_add_f16_e32 v18, v19, v18
	v_fma_f16 v19, v56, s23, v91
	v_fma_f16 v110, v48, s19, v109
	v_add_f16_e32 v18, v19, v18
	v_fma_f16 v19, v45, s19, -v92
	v_add_f16_e32 v107, v110, v107
	v_mul_f16_e32 v110, 0x3770, v62
	v_add_f16_e32 v19, v17, v19
	v_fma_f16 v20, v46, s15, -v94
	v_fma_f16 v111, v50, s14, v110
	v_add_f16_e32 v19, v20, v19
	v_fma_f16 v20, v48, s14, -v95
	v_add_f16_e32 v107, v111, v107
	v_mul_f16_e32 v111, 0xba95, v64
	v_add_f16_e32 v19, v20, v19
	v_fma_f16 v20, v50, s21, -v96
	;; [unrolled: 7-line block ×3, first 2 shown]
	v_fma_f16 v113, v54, s15, v112
	v_add_f16_e32 v19, v20, v19
	v_fma_f16 v20, v47, s24, v99
	v_add_f16_e32 v107, v113, v107
	v_mul_f16_e32 v113, 0x388b, v59
	v_add_f16_e32 v20, v36, v20
	v_fma_f16 v21, v49, s5, v101
	v_fma_f16 v114, v47, s23, v113
	v_mul_f16_e32 v115, 0xb5ac, v61
	v_add_f16_e32 v20, v21, v20
	v_fma_f16 v21, v51, s28, v102
	v_add_f16_e32 v114, v36, v114
	v_fma_f16 v116, v49, s28, v115
	;; [unrolled: 2-line block ×3, first 2 shown]
	v_add_f16_e32 v114, v116, v114
	v_mul_f16_e32 v116, 0xbbc4, v63
	v_add_f16_e32 v20, v21, v20
	v_fma_f16 v21, v55, s27, v104
	v_fma_f16 v117, v51, s29, v116
	v_add_f16_e32 v20, v21, v20
	v_fma_f16 v21, v56, s16, v105
	v_add_f16_e32 v114, v117, v114
	v_mul_f16_e32 v117, 0xb9fd, v65
	v_add_f16_e32 v20, v21, v20
	v_fma_f16 v21, v45, s21, -v106
	v_fma_f16 v118, v53, s16, v117
	v_add_f16_e32 v21, v17, v21
	v_fma_f16 v22, v46, s4, -v108
	v_add_f16_e32 v114, v118, v114
	v_mul_f16_e32 v118, 0x2fb7, v67
	v_add_f16_e32 v21, v22, v21
	v_fma_f16 v22, v48, s19, -v109
	v_fma_f16 v119, v55, s24, v118
	v_add_f16_e32 v21, v22, v21
	v_fma_f16 v22, v50, s14, -v110
	;; [unrolled: 7-line block ×3, first 2 shown]
	v_add_f16_e32 v114, v120, v114
	v_mul_f16_e32 v120, 0xba95, v57
	v_add_f16_e32 v21, v22, v21
	v_fma_f16 v22, v47, s27, v113
	v_fma_f16 v121, v45, s17, v120
	v_mul_f16_e32 v122, 0xbb7b, v58
	v_add_f16_e32 v22, v36, v22
	v_fma_f16 v23, v49, s20, v115
	v_add_f16_e32 v121, v17, v121
	v_fma_f16 v123, v46, s19, v122
	;; [unrolled: 2-line block ×3, first 2 shown]
	v_add_f16_e32 v121, v123, v121
	v_mul_f16_e32 v123, 0xb3a8, v60
	v_add_f16_e32 v22, v23, v22
	v_fma_f16 v23, v53, s26, v117
	v_fma_f16 v124, v48, s4, v123
	v_add_f16_e32 v22, v23, v22
	v_fma_f16 v23, v55, s22, v118
	v_add_f16_e32 v121, v124, v121
	v_mul_f16_e32 v124, 0x394e, v62
	v_add_f16_e32 v22, v23, v22
	v_fma_f16 v23, v56, s18, v119
	v_fma_f16 v125, v50, s15, v124
	v_add_f16_e32 v22, v23, v22
	v_fma_f16 v23, v45, s17, -v120
	v_add_f16_e32 v121, v125, v121
	v_mul_f16_e32 v125, 0x3bf1, v64
	v_add_f16_e32 v23, v17, v23
	v_fma_f16 v24, v46, s19, -v122
	v_fma_f16 v126, v52, s21, v125
	v_add_f16_e32 v23, v24, v23
	v_fma_f16 v24, v48, s4, -v123
	v_add_f16_e32 v121, v126, v121
	v_mul_f16_e32 v126, 0x3770, v66
	v_add_f16_e32 v23, v24, v23
	v_fma_f16 v24, v50, s15, -v124
	v_fma_f16 v127, v54, s14, v126
	v_mul_f16_e32 v59, 0x3b15, v59
	v_add_f16_e32 v23, v24, v23
	v_fma_f16 v24, v52, s21, -v125
	v_add_f16_e32 v121, v127, v121
	v_fma_f16 v127, v47, s18, v59
	v_mul_f16_e32 v61, 0x388b, v61
	v_add_f16_e32 v23, v24, v23
	v_fma_f16 v24, v54, s14, -v126
	v_add_f16_e32 v127, v36, v127
	v_fma_f16 v128, v49, s23, v61
	v_mul_f16_e32 v63, 0x2fb7, v63
	v_add_f16_e32 v12, v39, v36
	v_add_f16_e32 v23, v24, v23
	v_fma_f16 v24, v47, s25, v59
	v_add_f16_e32 v127, v128, v127
	v_fma_f16 v128, v51, s22, v63
	v_mul_f16_e32 v65, 0xb5ac, v65
	v_add_f16_e32 v11, v29, v11
	v_add_f16_e32 v12, v38, v12
	;; [unrolled: 1-line block ×3, first 2 shown]
	v_fma_f16 v29, v49, s27, v61
	v_add_f16_e32 v127, v128, v127
	v_fma_f16 v128, v53, s28, v65
	v_mul_f16_e32 v67, 0xb9fd, v67
	v_add_f16_e32 v12, v37, v12
	v_add_f16_e32 v24, v29, v24
	v_fma_f16 v29, v51, s24, v63
	v_add_f16_e32 v127, v128, v127
	v_fma_f16 v128, v55, s26, v67
	v_mul_f16_e32 v68, 0xbbc4, v68
	v_add_f16_e32 v12, v43, v12
	v_add_f16_e32 v24, v29, v24
	;; [unrolled: 6-line block ×5, first 2 shown]
	v_fma_f16 v29, v45, s14, -v57
	v_add_f16_e32 v128, v129, v128
	v_fma_f16 v129, v48, s21, v60
	v_mul_f16_e32 v62, 0xbb7b, v62
	v_add_f16_e32 v12, v33, v12
	v_add_f16_e32 v17, v17, v29
	v_fma_f16 v29, v46, s17, -v58
	v_add_f16_e32 v128, v129, v128
	v_fma_f16 v129, v50, s19, v62
	v_mul_f16_e32 v64, 0xb94e, v64
	v_add_f16_e32 v12, v32, v12
	v_add_f16_e32 v17, v29, v17
	;; [unrolled: 6-line block ×3, first 2 shown]
	v_fma_f16 v29, v50, s19, -v62
	v_add_f16_e32 v128, v129, v128
	v_fma_f16 v129, v54, s4, v66
	v_add_f16_e32 v12, v30, v12
	v_add_f16_e32 v17, v29, v17
	v_fma_f16 v29, v52, s15, -v64
	v_add_f16_e32 v128, v129, v128
	v_add_f16_e32 v12, v34, v12
	;; [unrolled: 1-line block ×3, first 2 shown]
	v_fma_f16 v29, v54, s4, -v66
	v_add_f16_e32 v17, v29, v17
	v_lshlrev_b32_e32 v28, 2, v28
	v_pack_b32_f16 v29, v128, v127
	v_pack_b32_f16 v11, v11, v12
	ds_write2_b32 v28, v11, v29 offset1:1
	v_pack_b32_f16 v11, v107, v100
	v_pack_b32_f16 v12, v121, v114
	ds_write2_b32 v28, v12, v11 offset0:2 offset1:3
	v_pack_b32_f16 v11, v79, v72
	v_pack_b32_f16 v12, v93, v86
	s_mov_b32 s4, 0x5040100
	ds_write2_b32 v28, v12, v11 offset0:4 offset1:5
	v_pack_b32_f16 v11, v69, v71
	v_perm_b32 v12, v44, v25, s4
	ds_write2_b32 v28, v11, v12 offset0:6 offset1:7
	v_pack_b32_f16 v11, v19, v18
	v_pack_b32_f16 v12, v14, v13
	ds_write2_b32 v28, v12, v11 offset0:8 offset1:9
	v_pack_b32_f16 v11, v23, v22
	v_pack_b32_f16 v12, v21, v20
	ds_write2_b32 v28, v12, v11 offset0:10 offset1:11
	v_pack_b32_f16 v11, v17, v24
	ds_write_b32 v28, v11 offset:48
.LBB0_17:
	s_or_b64 exec, exec, s[2:3]
	s_waitcnt lgkmcnt(0)
	; wave barrier
	s_waitcnt lgkmcnt(0)
	ds_read2_b32 v[11:12], v26 offset1:52
	ds_read2_b32 v[17:18], v26 offset0:104 offset1:156
	v_add_u32_e32 v13, 0x200, v26
	ds_read2_b32 v[19:20], v13 offset0:80 offset1:132
	ds_read_b32 v21, v26 offset:1248
	s_waitcnt lgkmcnt(3)
	v_lshrrev_b32_e32 v14, 16, v12
	v_mul_f16_sdwa v30, v0, v14 dst_sel:DWORD dst_unused:UNUSED_PAD src0_sel:WORD_1 src1_sel:DWORD
	s_waitcnt lgkmcnt(2)
	v_lshrrev_b32_e32 v22, 16, v17
	v_fma_f16 v30, v0, v12, v30
	v_mul_f16_sdwa v12, v0, v12 dst_sel:DWORD dst_unused:UNUSED_PAD src0_sel:WORD_1 src1_sel:DWORD
	v_lshrrev_b32_e32 v23, 16, v18
	v_fma_f16 v0, v0, v14, -v12
	v_mul_f16_sdwa v12, v1, v22 dst_sel:DWORD dst_unused:UNUSED_PAD src0_sel:WORD_1 src1_sel:DWORD
	v_mul_f16_sdwa v14, v1, v17 dst_sel:DWORD dst_unused:UNUSED_PAD src0_sel:WORD_1 src1_sel:DWORD
	s_waitcnt lgkmcnt(1)
	v_lshrrev_b32_e32 v24, 16, v19
	v_fma_f16 v12, v1, v17, v12
	v_fma_f16 v1, v1, v22, -v14
	v_mul_f16_sdwa v14, v2, v23 dst_sel:DWORD dst_unused:UNUSED_PAD src0_sel:WORD_1 src1_sel:DWORD
	v_mul_f16_sdwa v17, v2, v18 dst_sel:DWORD dst_unused:UNUSED_PAD src0_sel:WORD_1 src1_sel:DWORD
	v_lshrrev_b32_e32 v28, 16, v20
	v_fma_f16 v14, v2, v18, v14
	v_fma_f16 v2, v2, v23, -v17
	v_mul_f16_sdwa v17, v3, v24 dst_sel:DWORD dst_unused:UNUSED_PAD src0_sel:WORD_1 src1_sel:DWORD
	v_mul_f16_sdwa v18, v3, v19 dst_sel:DWORD dst_unused:UNUSED_PAD src0_sel:WORD_1 src1_sel:DWORD
	s_waitcnt lgkmcnt(0)
	v_lshrrev_b32_e32 v29, 16, v21
	v_fma_f16 v17, v3, v19, v17
	v_fma_f16 v3, v3, v24, -v18
	v_mul_f16_sdwa v18, v15, v28 dst_sel:DWORD dst_unused:UNUSED_PAD src0_sel:WORD_1 src1_sel:DWORD
	v_mul_f16_sdwa v19, v15, v20 dst_sel:DWORD dst_unused:UNUSED_PAD src0_sel:WORD_1 src1_sel:DWORD
	v_fma_f16 v18, v15, v20, v18
	v_fma_f16 v15, v15, v28, -v19
	v_mul_f16_sdwa v19, v16, v29 dst_sel:DWORD dst_unused:UNUSED_PAD src0_sel:WORD_1 src1_sel:DWORD
	v_mul_f16_sdwa v20, v16, v21 dst_sel:DWORD dst_unused:UNUSED_PAD src0_sel:WORD_1 src1_sel:DWORD
	v_fma_f16 v19, v16, v21, v19
	v_fma_f16 v16, v16, v29, -v20
	v_add_f16_e32 v20, v30, v19
	v_add_f16_e32 v21, v0, v16
	v_sub_f16_e32 v0, v0, v16
	v_add_f16_e32 v16, v12, v18
	v_add_f16_e32 v22, v1, v15
	v_sub_f16_e32 v12, v12, v18
	v_sub_f16_e32 v1, v1, v15
	v_add_f16_e32 v15, v14, v17
	v_add_f16_e32 v18, v2, v3
	v_sub_f16_e32 v14, v17, v14
	v_sub_f16_e32 v19, v30, v19
	;; [unrolled: 1-line block ×3, first 2 shown]
	v_add_f16_e32 v3, v16, v20
	v_add_f16_e32 v17, v22, v21
	v_sub_f16_e32 v23, v16, v20
	v_sub_f16_e32 v24, v22, v21
	;; [unrolled: 1-line block ×4, first 2 shown]
	v_add_f16_e32 v28, v14, v12
	v_sub_f16_e32 v16, v15, v16
	v_sub_f16_e32 v22, v18, v22
	;; [unrolled: 1-line block ×5, first 2 shown]
	v_add_f16_e32 v3, v15, v3
	v_add_f16_e32 v15, v18, v17
	;; [unrolled: 1-line block ×3, first 2 shown]
	v_mul_f16_e32 v19, 0x3a52, v20
	v_mul_f16_e32 v20, 0x3a52, v21
	s_movk_i32 s2, 0x2b26
	v_mul_f16_e32 v21, 0x2b26, v16
	v_mul_f16_e32 v28, 0x2b26, v22
	v_fma_f16 v16, v16, s2, v19
	v_fma_f16 v22, v22, s2, v20
	s_movk_i32 s2, 0x39e0
	v_add_f16_e32 v29, v2, v1
	v_sub_f16_e32 v31, v2, v1
	v_fma_f16 v21, v23, s2, -v21
	v_fma_f16 v28, v24, s2, -v28
	s_mov_b32 s2, 0xb9e0
	v_sub_f16_e32 v2, v0, v2
	v_sub_f16_e32 v1, v1, v0
	v_add_f16_e32 v0, v29, v0
	v_mul_f16_e32 v29, 0x3846, v30
	v_mul_f16_e32 v30, 0x3846, v31
	v_fma_f16 v19, v23, s2, -v19
	v_fma_f16 v20, v24, s2, -v20
	s_mov_b32 s2, 0xb574
	v_add_f16_e32 v18, v11, v3
	v_add_f16_sdwa v11, v11, v15 dst_sel:DWORD dst_unused:UNUSED_PAD src0_sel:WORD_1 src1_sel:DWORD
	v_mul_f16_e32 v31, 0xbb00, v12
	v_mul_f16_e32 v32, 0xbb00, v1
	s_mov_b32 s4, 0xbcab
	v_fma_f16 v23, v14, s2, v29
	v_fma_f16 v24, v2, s2, v30
	s_movk_i32 s2, 0x3574
	s_mov_b32 s3, 0xbb00
	v_fma_f16 v3, v3, s4, v18
	v_fma_f16 v15, v15, s4, v11
	v_fma_f16 v14, v14, s2, -v31
	v_fma_f16 v2, v2, s2, -v32
	s_mov_b32 s2, 0xb70e
	v_fma_f16 v12, v12, s3, -v29
	v_fma_f16 v1, v1, s3, -v30
	v_add_f16_e32 v16, v16, v3
	v_add_f16_e32 v22, v22, v15
	v_add_f16_e32 v21, v21, v3
	v_add_f16_e32 v28, v28, v15
	v_add_f16_e32 v3, v19, v3
	v_add_f16_e32 v15, v20, v15
	v_fma_f16 v19, v17, s2, v23
	v_fma_f16 v20, v0, s2, v24
	v_fma_f16 v12, v17, s2, v12
	v_fma_f16 v1, v0, s2, v1
	v_fma_f16 v17, v17, s2, v14
	v_fma_f16 v2, v0, s2, v2
	v_add_f16_e32 v23, v20, v16
	v_sub_f16_e32 v29, v22, v19
	v_add_f16_e32 v30, v2, v3
	v_sub_f16_e32 v31, v15, v17
	v_sub_f16_e32 v32, v21, v1
	v_add_f16_e32 v33, v12, v28
	v_add_f16_e32 v0, v1, v21
	v_sub_f16_e32 v1, v3, v2
	v_pack_b32_f16 v2, v18, v11
	v_pack_b32_f16 v3, v23, v29
	v_sub_f16_e32 v14, v28, v12
	v_add_f16_e32 v15, v17, v15
	s_waitcnt lgkmcnt(0)
	; wave barrier
	ds_write2_b32 v35, v2, v3 offset1:13
	v_pack_b32_f16 v2, v30, v31
	v_pack_b32_f16 v3, v32, v33
	v_sub_f16_e32 v24, v16, v20
	v_add_f16_e32 v16, v19, v22
	ds_write2_b32 v35, v2, v3 offset0:26 offset1:39
	v_pack_b32_f16 v2, v0, v14
	v_pack_b32_f16 v3, v1, v15
	ds_write2_b32 v35, v2, v3 offset0:52 offset1:65
	v_pack_b32_f16 v2, v24, v16
	ds_write_b32 v35, v2 offset:312
	s_waitcnt lgkmcnt(0)
	; wave barrier
	s_waitcnt lgkmcnt(0)
	ds_read2_b32 v[2:3], v26 offset1:91
	ds_read2_b32 v[11:12], v13 offset0:54 offset1:145
	s_and_saveexec_b64 s[2:3], s[0:1]
	s_cbranch_execz .LBB0_19
; %bb.18:
	ds_read2_b32 v[0:1], v26 offset0:52 offset1:143
	ds_read2_b32 v[24:25], v13 offset0:106 offset1:197
	s_waitcnt lgkmcnt(1)
	v_lshrrev_b32_e32 v14, 16, v0
	v_lshrrev_b32_e32 v15, 16, v1
	s_waitcnt lgkmcnt(0)
	v_lshrrev_b32_e32 v16, 16, v24
	v_lshrrev_b32_e32 v44, 16, v25
.LBB0_19:
	s_or_b64 exec, exec, s[2:3]
	s_waitcnt lgkmcnt(1)
	v_lshrrev_b32_e32 v18, 16, v3
	v_mul_f16_sdwa v21, v7, v18 dst_sel:DWORD dst_unused:UNUSED_PAD src0_sel:WORD_1 src1_sel:DWORD
	s_waitcnt lgkmcnt(0)
	v_lshrrev_b32_e32 v19, 16, v11
	v_fma_f16 v21, v7, v3, v21
	v_mul_f16_sdwa v3, v7, v3 dst_sel:DWORD dst_unused:UNUSED_PAD src0_sel:WORD_1 src1_sel:DWORD
	v_fma_f16 v3, v7, v18, -v3
	v_mul_f16_sdwa v7, v8, v19 dst_sel:DWORD dst_unused:UNUSED_PAD src0_sel:WORD_1 src1_sel:DWORD
	v_lshrrev_b32_e32 v20, 16, v12
	v_fma_f16 v7, v8, v11, v7
	v_mul_f16_sdwa v11, v8, v11 dst_sel:DWORD dst_unused:UNUSED_PAD src0_sel:WORD_1 src1_sel:DWORD
	v_fma_f16 v8, v8, v19, -v11
	v_mul_f16_sdwa v11, v9, v20 dst_sel:DWORD dst_unused:UNUSED_PAD src0_sel:WORD_1 src1_sel:DWORD
	v_fma_f16 v11, v9, v12, v11
	v_mul_f16_sdwa v12, v9, v12 dst_sel:DWORD dst_unused:UNUSED_PAD src0_sel:WORD_1 src1_sel:DWORD
	v_lshrrev_b32_e32 v17, 16, v2
	v_fma_f16 v9, v9, v20, -v12
	v_sub_f16_e32 v7, v2, v7
	v_sub_f16_e32 v8, v17, v8
	;; [unrolled: 1-line block ×4, first 2 shown]
	v_fma_f16 v2, v2, 2.0, -v7
	v_fma_f16 v12, v17, 2.0, -v8
	;; [unrolled: 1-line block ×4, first 2 shown]
	v_sub_f16_e32 v17, v2, v17
	v_sub_f16_e32 v3, v12, v3
	v_add_f16_e32 v9, v7, v9
	v_sub_f16_e32 v11, v8, v11
	v_fma_f16 v2, v2, 2.0, -v17
	v_fma_f16 v12, v12, 2.0, -v3
	v_fma_f16 v7, v7, 2.0, -v9
	v_fma_f16 v8, v8, 2.0, -v11
	v_pack_b32_f16 v2, v2, v12
	v_pack_b32_f16 v7, v7, v8
	ds_write2_b32 v26, v2, v7 offset1:91
	v_pack_b32_f16 v2, v17, v3
	v_pack_b32_f16 v3, v9, v11
	ds_write2_b32 v13, v2, v3 offset0:54 offset1:145
	s_and_saveexec_b64 s[2:3], s[0:1]
	s_cbranch_execz .LBB0_21
; %bb.20:
	v_mul_f16_sdwa v2, v5, v16 dst_sel:DWORD dst_unused:UNUSED_PAD src0_sel:WORD_1 src1_sel:DWORD
	v_mul_f16_sdwa v11, v5, v24 dst_sel:DWORD dst_unused:UNUSED_PAD src0_sel:WORD_1 src1_sel:DWORD
	v_fma_f16 v2, v5, v24, v2
	v_mul_f16_sdwa v3, v4, v1 dst_sel:DWORD dst_unused:UNUSED_PAD src0_sel:WORD_1 src1_sel:DWORD
	v_mul_f16_sdwa v7, v6, v25 dst_sel:DWORD dst_unused:UNUSED_PAD src0_sel:WORD_1 src1_sel:DWORD
	v_fma_f16 v5, v5, v16, -v11
	v_mul_f16_sdwa v11, v4, v15 dst_sel:DWORD dst_unused:UNUSED_PAD src0_sel:WORD_1 src1_sel:DWORD
	v_fma_f16 v3, v4, v15, -v3
	v_fma_f16 v7, v6, v44, -v7
	v_fma_f16 v1, v4, v1, v11
	v_mul_f16_sdwa v4, v6, v44 dst_sel:DWORD dst_unused:UNUSED_PAD src0_sel:WORD_1 src1_sel:DWORD
	v_sub_f16_e32 v2, v0, v2
	v_sub_f16_e32 v7, v3, v7
	v_fma_f16 v4, v6, v25, v4
	v_add_f16_e32 v8, v2, v7
	v_sub_f16_e32 v5, v14, v5
	v_sub_f16_e32 v4, v1, v4
	v_fma_f16 v9, v2, 2.0, -v8
	v_fma_f16 v0, v0, 2.0, -v2
	;; [unrolled: 1-line block ×5, first 2 shown]
	v_sub_f16_e32 v6, v5, v4
	v_sub_f16_e32 v1, v0, v1
	;; [unrolled: 1-line block ×3, first 2 shown]
	v_fma_f16 v11, v5, 2.0, -v6
	v_fma_f16 v0, v0, 2.0, -v1
	v_fma_f16 v2, v2, 2.0, -v3
	v_pack_b32_f16 v0, v0, v2
	v_pack_b32_f16 v2, v9, v11
	ds_write2_b32 v26, v0, v2 offset0:52 offset1:143
	v_pack_b32_f16 v0, v1, v3
	v_pack_b32_f16 v1, v8, v6
	v_add_u32_e32 v2, 0x200, v26
	ds_write2_b32 v2, v0, v1 offset0:106 offset1:197
.LBB0_21:
	s_or_b64 exec, exec, s[2:3]
	s_waitcnt lgkmcnt(0)
	; wave barrier
	s_waitcnt lgkmcnt(0)
	s_and_b64 exec, exec, vcc
	s_cbranch_execz .LBB0_23
; %bb.22:
	global_load_dword v5, v26, s[6:7]
	global_load_dword v8, v26, s[6:7] offset:112
	ds_read_b32 v18, v26
	ds_read2_b32 v[0:1], v26 offset0:28 offset1:56
	global_load_dword v9, v26, s[6:7] offset:224
	global_load_dword v11, v26, s[6:7] offset:336
	;; [unrolled: 1-line block ×5, first 2 shown]
	v_mad_u64_u32 v[14:15], s[0:1], s10, v10, 0
	v_mad_u64_u32 v[2:3], s[0:1], s8, v27, 0
	v_mov_b32_e32 v6, v15
	v_mov_b32_e32 v4, 0x7c00
	s_mov_b32 s14, 0x16816817
	s_mov_b32 s15, 0x3f668168
	s_waitcnt lgkmcnt(0)
	v_lshrrev_b32_e32 v21, 16, v0
	s_movk_i32 s18, 0x1ff
	s_movk_i32 s17, 0xffe
	s_movk_i32 s16, 0x40f
	s_mov_b32 s10, 0x8000
	s_waitcnt vmcnt(0)
	v_mad_u64_u32 v[15:16], s[0:1], s11, v10, v[6:7]
	v_lshrrev_b32_e32 v6, 16, v18
	v_mad_u64_u32 v[16:17], s[0:1], s9, v27, v[3:4]
	v_mul_f16_sdwa v3, v6, v5 dst_sel:DWORD dst_unused:UNUSED_PAD src0_sel:DWORD src1_sel:WORD_1
	v_fma_f16 v3, v18, v5, v3
	v_mul_f16_sdwa v10, v18, v5 dst_sel:DWORD dst_unused:UNUSED_PAD src0_sel:DWORD src1_sel:WORD_1
	v_cvt_f32_f16_e32 v3, v3
	v_fma_f16 v5, v5, v6, -v10
	v_cvt_f32_f16_e32 v10, v5
	v_lshlrev_b64 v[14:15], 2, v[14:15]
	v_cvt_f64_f32_e32 v[5:6], v3
	v_mul_f16_sdwa v3, v21, v8 dst_sel:DWORD dst_unused:UNUSED_PAD src0_sel:DWORD src1_sel:WORD_1
	v_cvt_f64_f32_e32 v[17:18], v10
	v_fma_f16 v3, v0, v8, v3
	v_mul_f64 v[5:6], v[5:6], s[14:15]
	v_cvt_f32_f16_e32 v10, v3
	v_mul_f64 v[17:18], v[17:18], s[14:15]
	v_mov_b32_e32 v3, v16
	v_lshlrev_b64 v[2:3], 2, v[2:3]
	v_cvt_f64_f32_e32 v[19:20], v10
	v_mul_f16_sdwa v0, v0, v8 dst_sel:DWORD dst_unused:UNUSED_PAD src0_sel:DWORD src1_sel:WORD_1
	v_fma_f16 v0, v8, v21, -v0
	v_and_or_b32 v5, v6, s18, v5
	v_cmp_ne_u32_e32 vcc, 0, v5
	v_and_or_b32 v17, v18, s18, v17
	v_lshrrev_b32_e32 v10, 8, v6
	v_bfe_u32 v16, v6, 20, 11
	v_cndmask_b32_e64 v5, 0, 1, vcc
	v_cmp_ne_u32_e32 vcc, 0, v17
	v_lshrrev_b32_e32 v22, 8, v18
	v_bfe_u32 v23, v18, 20, 11
	v_sub_u32_e32 v24, 0x3f1, v16
	v_cndmask_b32_e64 v17, 0, 1, vcc
	v_and_or_b32 v5, v10, s17, v5
	v_sub_u32_e32 v25, 0x3f1, v23
	v_med3_i32 v10, v24, 0, 13
	v_and_or_b32 v17, v22, s17, v17
	v_or_b32_e32 v24, 0x1000, v5
	v_add_u32_e32 v16, 0xfffffc10, v16
	v_med3_i32 v22, v25, 0, 13
	v_cmp_ne_u32_e32 vcc, 0, v5
	v_or_b32_e32 v28, 0x1000, v17
	v_lshrrev_b32_e32 v30, v10, v24
	v_add_u32_e32 v23, 0xfffffc10, v23
	v_lshl_or_b32 v25, v16, 12, v5
	v_cndmask_b32_e64 v5, 0, 1, vcc
	v_cmp_ne_u32_e32 vcc, 0, v17
	v_lshrrev_b32_e32 v31, v22, v28
	v_lshlrev_b32_e32 v10, v10, v30
	v_lshl_or_b32 v29, v23, 12, v17
	v_cndmask_b32_e64 v17, 0, 1, vcc
	v_lshlrev_b32_e32 v22, v22, v31
	v_cmp_ne_u32_e32 vcc, v10, v24
	v_cndmask_b32_e64 v10, 0, 1, vcc
	v_cmp_ne_u32_e32 vcc, v22, v28
	v_cndmask_b32_e64 v22, 0, 1, vcc
	v_or_b32_e32 v10, v30, v10
	v_cmp_gt_i32_e32 vcc, 1, v16
	v_cndmask_b32_e32 v10, v25, v10, vcc
	v_or_b32_e32 v22, v31, v22
	v_cmp_gt_i32_e32 vcc, 1, v23
	v_and_b32_e32 v24, 7, v10
	v_cndmask_b32_e32 v22, v29, v22, vcc
	v_cmp_lt_i32_e32 vcc, 5, v24
	v_cmp_eq_u32_e64 s[0:1], 3, v24
	v_lshrrev_b32_e32 v10, 2, v10
	v_and_b32_e32 v25, 7, v22
	s_or_b64 vcc, s[0:1], vcc
	v_cmp_lt_i32_e64 s[2:3], 5, v25
	v_cmp_eq_u32_e64 s[4:5], 3, v25
	v_addc_co_u32_e32 v10, vcc, 0, v10, vcc
	v_lshrrev_b32_e32 v22, 2, v22
	s_or_b64 vcc, s[4:5], s[2:3]
	v_addc_co_u32_e32 v22, vcc, 0, v22, vcc
	v_cmp_gt_i32_e32 vcc, 31, v16
	v_cndmask_b32_e32 v10, v4, v10, vcc
	v_cmp_gt_i32_e32 vcc, 31, v23
	v_lshl_or_b32 v5, v5, 9, v4
	v_cndmask_b32_e32 v22, v4, v22, vcc
	v_cmp_eq_u32_e32 vcc, s16, v16
	v_lshl_or_b32 v17, v17, 9, v4
	v_cndmask_b32_e32 v5, v10, v5, vcc
	v_cmp_eq_u32_e32 vcc, s16, v23
	v_cndmask_b32_e32 v10, v22, v17, vcc
	v_mul_f64 v[16:17], v[19:20], s[14:15]
	v_lshrrev_b32_e32 v6, 16, v6
	v_lshrrev_b32_e32 v18, 16, v18
	v_and_or_b32 v5, v6, s10, v5
	v_and_or_b32 v6, v18, s10, v10
	v_and_b32_e32 v5, 0xffff, v5
	v_lshl_or_b32 v10, v6, 16, v5
	v_mov_b32_e32 v6, s13
	v_add_co_u32_e32 v5, vcc, s12, v14
	v_addc_co_u32_e32 v6, vcc, v6, v15, vcc
	v_add_co_u32_e32 v2, vcc, v5, v2
	v_addc_co_u32_e32 v3, vcc, v6, v3, vcc
	global_store_dword v[2:3], v10, off
	v_and_or_b32 v10, v17, s18, v16
	v_cmp_ne_u32_e32 vcc, 0, v10
	v_cndmask_b32_e64 v10, 0, 1, vcc
	v_lshrrev_b32_e32 v14, 8, v17
	v_bfe_u32 v15, v17, 20, 11
	v_and_or_b32 v10, v14, s17, v10
	v_sub_u32_e32 v16, 0x3f1, v15
	v_or_b32_e32 v14, 0x1000, v10
	v_med3_i32 v16, v16, 0, 13
	v_lshrrev_b32_e32 v18, v16, v14
	v_lshlrev_b32_e32 v16, v16, v18
	v_cmp_ne_u32_e32 vcc, v16, v14
	v_cndmask_b32_e64 v14, 0, 1, vcc
	v_add_u32_e32 v16, 0xfffffc10, v15
	v_cvt_f32_f16_e32 v0, v0
	v_or_b32_e32 v14, v18, v14
	v_lshl_or_b32 v15, v16, 12, v10
	v_cmp_gt_i32_e32 vcc, 1, v16
	v_cndmask_b32_e32 v14, v15, v14, vcc
	v_and_b32_e32 v15, 7, v14
	v_cmp_lt_i32_e32 vcc, 5, v15
	v_cmp_eq_u32_e64 s[0:1], 3, v15
	v_lshrrev_b32_e32 v8, 2, v14
	v_cvt_f64_f32_e32 v[14:15], v0
	s_or_b64 vcc, s[0:1], vcc
	v_addc_co_u32_e32 v0, vcc, 0, v8, vcc
	v_mul_f64 v[14:15], v[14:15], s[14:15]
	v_cmp_gt_i32_e32 vcc, 31, v16
	v_cndmask_b32_e32 v0, v4, v0, vcc
	v_cmp_ne_u32_e32 vcc, 0, v10
	v_cndmask_b32_e64 v8, 0, 1, vcc
	v_lshl_or_b32 v8, v8, 9, v4
	v_cmp_eq_u32_e32 vcc, s16, v16
	v_cndmask_b32_e32 v0, v0, v8, vcc
	v_lshrrev_b32_e32 v8, 16, v17
	v_and_or_b32 v0, v8, s10, v0
	v_and_or_b32 v8, v15, s18, v14
	v_cmp_ne_u32_e32 vcc, 0, v8
	v_cndmask_b32_e64 v8, 0, 1, vcc
	v_lshrrev_b32_e32 v10, 8, v15
	v_bfe_u32 v14, v15, 20, 11
	v_and_or_b32 v8, v10, s17, v8
	v_sub_u32_e32 v16, 0x3f1, v14
	v_or_b32_e32 v10, 0x1000, v8
	v_med3_i32 v16, v16, 0, 13
	v_lshrrev_b32_e32 v17, v16, v10
	v_lshlrev_b32_e32 v16, v16, v17
	v_cmp_ne_u32_e32 vcc, v16, v10
	v_cndmask_b32_e64 v10, 0, 1, vcc
	v_add_u32_e32 v14, 0xfffffc10, v14
	v_or_b32_e32 v10, v17, v10
	v_lshl_or_b32 v16, v14, 12, v8
	v_cmp_gt_i32_e32 vcc, 1, v14
	v_cndmask_b32_e32 v10, v16, v10, vcc
	v_and_b32_e32 v16, 7, v10
	v_cmp_lt_i32_e32 vcc, 5, v16
	v_cmp_eq_u32_e64 s[0:1], 3, v16
	v_lshrrev_b32_e32 v10, 2, v10
	s_or_b64 vcc, s[0:1], vcc
	v_addc_co_u32_e32 v10, vcc, 0, v10, vcc
	v_cmp_gt_i32_e32 vcc, 31, v14
	v_cndmask_b32_e32 v10, v4, v10, vcc
	v_cmp_ne_u32_e32 vcc, 0, v8
	v_lshrrev_b32_e32 v16, 16, v1
	v_cndmask_b32_e64 v8, 0, 1, vcc
	v_cmp_eq_u32_e32 vcc, s16, v14
	v_mul_f16_sdwa v14, v16, v9 dst_sel:DWORD dst_unused:UNUSED_PAD src0_sel:DWORD src1_sel:WORD_1
	v_fma_f16 v14, v1, v9, v14
	v_cvt_f32_f16_e32 v14, v14
	v_lshl_or_b32 v8, v8, 9, v4
	v_cndmask_b32_e32 v8, v10, v8, vcc
	v_lshrrev_b32_e32 v10, 16, v15
	v_cvt_f64_f32_e32 v[14:15], v14
	s_mul_i32 s0, s9, 0x70
	s_mul_hi_u32 s2, s8, 0x70
	v_and_or_b32 v8, v10, s10, v8
	v_mul_f64 v[14:15], v[14:15], s[14:15]
	v_and_b32_e32 v0, 0xffff, v0
	s_add_i32 s2, s2, s0
	s_mul_i32 s3, s8, 0x70
	v_lshl_or_b32 v0, v8, 16, v0
	v_mov_b32_e32 v8, s2
	v_add_co_u32_e32 v2, vcc, s3, v2
	v_addc_co_u32_e32 v3, vcc, v3, v8, vcc
	global_store_dword v[2:3], v0, off
	v_and_or_b32 v0, v15, s18, v14
	v_cmp_ne_u32_e32 vcc, 0, v0
	v_cndmask_b32_e64 v0, 0, 1, vcc
	v_lshrrev_b32_e32 v8, 8, v15
	v_bfe_u32 v10, v15, 20, 11
	v_and_or_b32 v8, v8, s17, v0
	v_sub_u32_e32 v14, 0x3f1, v10
	v_or_b32_e32 v0, 0x1000, v8
	v_med3_i32 v14, v14, 0, 13
	v_lshrrev_b32_e32 v17, v14, v0
	v_mul_f16_sdwa v1, v1, v9 dst_sel:DWORD dst_unused:UNUSED_PAD src0_sel:DWORD src1_sel:WORD_1
	v_lshlrev_b32_e32 v14, v14, v17
	v_fma_f16 v1, v9, v16, -v1
	v_cmp_ne_u32_e32 vcc, v14, v0
	v_cvt_f32_f16_e32 v1, v1
	v_cndmask_b32_e64 v0, 0, 1, vcc
	v_add_u32_e32 v10, 0xfffffc10, v10
	v_or_b32_e32 v0, v17, v0
	v_lshl_or_b32 v14, v10, 12, v8
	v_cmp_gt_i32_e32 vcc, 1, v10
	v_cndmask_b32_e32 v0, v14, v0, vcc
	v_and_b32_e32 v14, 7, v0
	v_lshrrev_b32_e32 v9, 2, v0
	v_cvt_f64_f32_e32 v[0:1], v1
	v_cmp_lt_i32_e32 vcc, 5, v14
	v_cmp_eq_u32_e64 s[0:1], 3, v14
	s_or_b64 vcc, s[0:1], vcc
	v_mul_f64 v[0:1], v[0:1], s[14:15]
	v_addc_co_u32_e32 v9, vcc, 0, v9, vcc
	v_cmp_gt_i32_e32 vcc, 31, v10
	v_cndmask_b32_e32 v9, v4, v9, vcc
	v_cmp_ne_u32_e32 vcc, 0, v8
	v_cndmask_b32_e64 v8, 0, 1, vcc
	v_lshl_or_b32 v8, v8, 9, v4
	v_cmp_eq_u32_e32 vcc, s16, v10
	v_and_or_b32 v0, v1, s18, v0
	v_cndmask_b32_e32 v8, v9, v8, vcc
	v_lshrrev_b32_e32 v9, 16, v15
	v_cmp_ne_u32_e32 vcc, 0, v0
	v_and_or_b32 v10, v9, s10, v8
	v_cndmask_b32_e64 v0, 0, 1, vcc
	v_lshrrev_b32_e32 v8, 8, v1
	v_bfe_u32 v9, v1, 20, 11
	v_and_or_b32 v0, v8, s17, v0
	v_sub_u32_e32 v14, 0x3f1, v9
	v_or_b32_e32 v8, 0x1000, v0
	v_med3_i32 v14, v14, 0, 13
	v_lshrrev_b32_e32 v15, v14, v8
	v_lshlrev_b32_e32 v14, v14, v15
	v_cmp_ne_u32_e32 vcc, v14, v8
	v_cndmask_b32_e64 v8, 0, 1, vcc
	v_add_u32_e32 v14, 0xfffffc10, v9
	v_or_b32_e32 v8, v15, v8
	v_lshl_or_b32 v9, v14, 12, v0
	v_cmp_gt_i32_e32 vcc, 1, v14
	v_cndmask_b32_e32 v8, v9, v8, vcc
	v_and_b32_e32 v9, 7, v8
	v_cmp_lt_i32_e32 vcc, 5, v9
	v_cmp_eq_u32_e64 s[0:1], 3, v9
	v_lshrrev_b32_e32 v8, 2, v8
	s_or_b64 vcc, s[0:1], vcc
	v_addc_co_u32_e32 v15, vcc, 0, v8, vcc
	ds_read2_b32 v[8:9], v26 offset0:84 offset1:112
	v_cmp_gt_i32_e32 vcc, 31, v14
	v_cndmask_b32_e32 v15, v4, v15, vcc
	v_cmp_ne_u32_e32 vcc, 0, v0
	v_cndmask_b32_e64 v0, 0, 1, vcc
	s_waitcnt lgkmcnt(0)
	v_lshrrev_b32_e32 v16, 16, v8
	v_mul_f16_sdwa v17, v16, v11 dst_sel:DWORD dst_unused:UNUSED_PAD src0_sel:DWORD src1_sel:WORD_1
	v_fma_f16 v17, v8, v11, v17
	v_cvt_f32_f16_e32 v17, v17
	v_lshl_or_b32 v0, v0, 9, v4
	v_cmp_eq_u32_e32 vcc, s16, v14
	v_cndmask_b32_e32 v0, v15, v0, vcc
	v_cvt_f64_f32_e32 v[14:15], v17
	v_lshrrev_b32_e32 v1, 16, v1
	v_and_or_b32 v17, v1, s10, v0
	v_add_co_u32_e32 v2, vcc, s3, v2
	v_mul_f64 v[0:1], v[14:15], s[14:15]
	v_mov_b32_e32 v14, s2
	v_and_b32_e32 v10, 0xffff, v10
	v_addc_co_u32_e32 v3, vcc, v3, v14, vcc
	v_lshl_or_b32 v10, v17, 16, v10
	global_store_dword v[2:3], v10, off
	v_mul_f16_sdwa v8, v8, v11 dst_sel:DWORD dst_unused:UNUSED_PAD src0_sel:DWORD src1_sel:WORD_1
	v_and_or_b32 v0, v1, s18, v0
	v_cmp_ne_u32_e32 vcc, 0, v0
	v_cndmask_b32_e64 v0, 0, 1, vcc
	v_lshrrev_b32_e32 v10, 8, v1
	v_bfe_u32 v14, v1, 20, 11
	v_and_or_b32 v0, v10, s17, v0
	v_sub_u32_e32 v15, 0x3f1, v14
	v_or_b32_e32 v10, 0x1000, v0
	v_med3_i32 v15, v15, 0, 13
	v_lshrrev_b32_e32 v17, v15, v10
	v_lshlrev_b32_e32 v15, v15, v17
	v_cmp_ne_u32_e32 vcc, v15, v10
	v_fma_f16 v8, v11, v16, -v8
	v_cndmask_b32_e64 v10, 0, 1, vcc
	v_add_u32_e32 v14, 0xfffffc10, v14
	v_cvt_f32_f16_e32 v8, v8
	v_or_b32_e32 v10, v17, v10
	v_lshl_or_b32 v15, v14, 12, v0
	v_cmp_gt_i32_e32 vcc, 1, v14
	v_cndmask_b32_e32 v10, v15, v10, vcc
	v_and_b32_e32 v15, 7, v10
	v_cmp_lt_i32_e32 vcc, 5, v15
	v_cmp_eq_u32_e64 s[0:1], 3, v15
	v_lshrrev_b32_e32 v15, 2, v10
	v_cvt_f64_f32_e32 v[10:11], v8
	s_or_b64 vcc, s[0:1], vcc
	v_addc_co_u32_e32 v8, vcc, 0, v15, vcc
	v_mul_f64 v[10:11], v[10:11], s[14:15]
	v_cmp_gt_i32_e32 vcc, 31, v14
	v_cndmask_b32_e32 v8, v4, v8, vcc
	v_cmp_ne_u32_e32 vcc, 0, v0
	v_cndmask_b32_e64 v0, 0, 1, vcc
	v_lshl_or_b32 v0, v0, 9, v4
	v_cmp_eq_u32_e32 vcc, s16, v14
	v_cndmask_b32_e32 v0, v8, v0, vcc
	v_lshrrev_b32_e32 v1, 16, v1
	v_and_or_b32 v8, v1, s10, v0
	v_and_or_b32 v0, v11, s18, v10
	v_cmp_ne_u32_e32 vcc, 0, v0
	v_cndmask_b32_e64 v0, 0, 1, vcc
	v_lshrrev_b32_e32 v1, 8, v11
	v_bfe_u32 v10, v11, 20, 11
	v_and_or_b32 v0, v1, s17, v0
	v_sub_u32_e32 v14, 0x3f1, v10
	v_or_b32_e32 v1, 0x1000, v0
	v_med3_i32 v14, v14, 0, 13
	v_lshrrev_b32_e32 v15, v14, v1
	v_lshlrev_b32_e32 v14, v14, v15
	v_cmp_ne_u32_e32 vcc, v14, v1
	v_cndmask_b32_e64 v1, 0, 1, vcc
	v_add_u32_e32 v10, 0xfffffc10, v10
	v_or_b32_e32 v1, v15, v1
	v_lshl_or_b32 v14, v10, 12, v0
	v_cmp_gt_i32_e32 vcc, 1, v10
	v_cndmask_b32_e32 v1, v14, v1, vcc
	v_and_b32_e32 v14, 7, v1
	v_cmp_lt_i32_e32 vcc, 5, v14
	v_cmp_eq_u32_e64 s[0:1], 3, v14
	v_lshrrev_b32_e32 v14, 16, v9
	v_lshrrev_b32_e32 v1, 2, v1
	s_or_b64 vcc, s[0:1], vcc
	v_mul_f16_sdwa v15, v14, v12 dst_sel:DWORD dst_unused:UNUSED_PAD src0_sel:DWORD src1_sel:WORD_1
	v_addc_co_u32_e32 v1, vcc, 0, v1, vcc
	v_fma_f16 v15, v9, v12, v15
	v_cmp_gt_i32_e32 vcc, 31, v10
	v_cvt_f32_f16_e32 v15, v15
	v_cndmask_b32_e32 v1, v4, v1, vcc
	v_cmp_ne_u32_e32 vcc, 0, v0
	v_cndmask_b32_e64 v0, 0, 1, vcc
	v_lshl_or_b32 v0, v0, 9, v4
	v_cmp_eq_u32_e32 vcc, s16, v10
	v_cndmask_b32_e32 v10, v1, v0, vcc
	v_cvt_f64_f32_e32 v[0:1], v15
	v_lshrrev_b32_e32 v11, 16, v11
	v_and_or_b32 v10, v11, s10, v10
	v_and_b32_e32 v8, 0xffff, v8
	v_mul_f64 v[0:1], v[0:1], s[14:15]
	v_lshl_or_b32 v8, v10, 16, v8
	v_mov_b32_e32 v10, s2
	v_add_co_u32_e32 v2, vcc, s3, v2
	v_addc_co_u32_e32 v3, vcc, v3, v10, vcc
	global_store_dword v[2:3], v8, off
	v_and_or_b32 v0, v1, s18, v0
	v_cmp_ne_u32_e32 vcc, 0, v0
	v_cndmask_b32_e64 v0, 0, 1, vcc
	v_lshrrev_b32_e32 v8, 8, v1
	v_bfe_u32 v10, v1, 20, 11
	v_and_or_b32 v0, v8, s17, v0
	v_sub_u32_e32 v11, 0x3f1, v10
	v_or_b32_e32 v8, 0x1000, v0
	v_med3_i32 v11, v11, 0, 13
	v_lshrrev_b32_e32 v15, v11, v8
	v_lshlrev_b32_e32 v11, v11, v15
	v_mul_f16_sdwa v9, v9, v12 dst_sel:DWORD dst_unused:UNUSED_PAD src0_sel:DWORD src1_sel:WORD_1
	v_cmp_ne_u32_e32 vcc, v11, v8
	v_fma_f16 v9, v12, v14, -v9
	v_cndmask_b32_e64 v8, 0, 1, vcc
	v_add_u32_e32 v10, 0xfffffc10, v10
	v_cvt_f32_f16_e32 v9, v9
	v_or_b32_e32 v8, v15, v8
	v_lshl_or_b32 v11, v10, 12, v0
	v_cmp_gt_i32_e32 vcc, 1, v10
	v_cndmask_b32_e32 v8, v11, v8, vcc
	v_and_b32_e32 v11, 7, v8
	v_cmp_lt_i32_e32 vcc, 5, v11
	v_cmp_eq_u32_e64 s[0:1], 3, v11
	v_lshrrev_b32_e32 v11, 2, v8
	v_cvt_f64_f32_e32 v[8:9], v9
	s_or_b64 vcc, s[0:1], vcc
	v_addc_co_u32_e32 v11, vcc, 0, v11, vcc
	v_mul_f64 v[8:9], v[8:9], s[14:15]
	v_cmp_gt_i32_e32 vcc, 31, v10
	v_cndmask_b32_e32 v11, v4, v11, vcc
	v_cmp_ne_u32_e32 vcc, 0, v0
	v_cndmask_b32_e64 v0, 0, 1, vcc
	v_lshl_or_b32 v0, v0, 9, v4
	v_cmp_eq_u32_e32 vcc, s16, v10
	v_cndmask_b32_e32 v0, v11, v0, vcc
	v_lshrrev_b32_e32 v1, 16, v1
	v_and_or_b32 v12, v1, s10, v0
	v_and_or_b32 v0, v9, s18, v8
	v_cmp_ne_u32_e32 vcc, 0, v0
	v_cndmask_b32_e64 v0, 0, 1, vcc
	v_lshrrev_b32_e32 v1, 8, v9
	v_and_or_b32 v8, v1, s17, v0
	v_bfe_u32 v1, v9, 20, 11
	v_sub_u32_e32 v10, 0x3f1, v1
	v_or_b32_e32 v0, 0x1000, v8
	v_med3_i32 v10, v10, 0, 13
	v_lshrrev_b32_e32 v11, v10, v0
	v_lshlrev_b32_e32 v10, v10, v11
	v_cmp_ne_u32_e32 vcc, v10, v0
	v_cndmask_b32_e64 v0, 0, 1, vcc
	v_add_u32_e32 v10, 0xfffffc10, v1
	v_or_b32_e32 v0, v11, v0
	v_lshl_or_b32 v1, v10, 12, v8
	v_cmp_gt_i32_e32 vcc, 1, v10
	v_cndmask_b32_e32 v0, v1, v0, vcc
	v_and_b32_e32 v1, 7, v0
	v_cmp_lt_i32_e32 vcc, 5, v1
	v_cmp_eq_u32_e64 s[0:1], 3, v1
	v_lshrrev_b32_e32 v0, 2, v0
	s_or_b64 vcc, s[0:1], vcc
	v_addc_co_u32_e32 v11, vcc, 0, v0, vcc
	ds_read2_b32 v[0:1], v26 offset0:140 offset1:168
	v_cmp_gt_i32_e32 vcc, 31, v10
	v_cndmask_b32_e32 v11, v4, v11, vcc
	v_cmp_ne_u32_e32 vcc, 0, v8
	v_cndmask_b32_e64 v8, 0, 1, vcc
	s_waitcnt lgkmcnt(0)
	v_lshrrev_b32_e32 v14, 16, v0
	v_mul_f16_sdwa v15, v14, v13 dst_sel:DWORD dst_unused:UNUSED_PAD src0_sel:DWORD src1_sel:WORD_1
	v_fma_f16 v15, v0, v13, v15
	v_cvt_f32_f16_e32 v15, v15
	v_lshl_or_b32 v8, v8, 9, v4
	v_cmp_eq_u32_e32 vcc, s16, v10
	v_cndmask_b32_e32 v8, v11, v8, vcc
	v_cvt_f64_f32_e32 v[10:11], v15
	v_lshrrev_b32_e32 v9, 16, v9
	v_and_or_b32 v15, v9, s10, v8
	v_add_co_u32_e32 v2, vcc, s3, v2
	v_mul_f64 v[8:9], v[10:11], s[14:15]
	v_mov_b32_e32 v11, s2
	v_and_b32_e32 v12, 0xffff, v12
	v_addc_co_u32_e32 v3, vcc, v3, v11, vcc
	v_lshl_or_b32 v10, v15, 16, v12
	global_store_dword v[2:3], v10, off
	v_mul_f16_sdwa v0, v0, v13 dst_sel:DWORD dst_unused:UNUSED_PAD src0_sel:DWORD src1_sel:WORD_1
	v_and_or_b32 v8, v9, s18, v8
	v_cmp_ne_u32_e32 vcc, 0, v8
	v_cndmask_b32_e64 v8, 0, 1, vcc
	v_lshrrev_b32_e32 v10, 8, v9
	v_bfe_u32 v11, v9, 20, 11
	v_and_or_b32 v8, v10, s17, v8
	v_sub_u32_e32 v12, 0x3f1, v11
	v_or_b32_e32 v10, 0x1000, v8
	v_med3_i32 v12, v12, 0, 13
	v_lshrrev_b32_e32 v15, v12, v10
	v_lshlrev_b32_e32 v12, v12, v15
	v_cmp_ne_u32_e32 vcc, v12, v10
	v_fma_f16 v0, v13, v14, -v0
	v_cndmask_b32_e64 v10, 0, 1, vcc
	v_add_u32_e32 v12, 0xfffffc10, v11
	v_cvt_f32_f16_e32 v0, v0
	v_or_b32_e32 v10, v15, v10
	v_lshl_or_b32 v11, v12, 12, v8
	v_cmp_gt_i32_e32 vcc, 1, v12
	v_cndmask_b32_e32 v10, v11, v10, vcc
	v_and_b32_e32 v11, 7, v10
	v_cmp_lt_i32_e32 vcc, 5, v11
	v_cmp_eq_u32_e64 s[0:1], 3, v11
	v_lshrrev_b32_e32 v13, 2, v10
	v_cvt_f64_f32_e32 v[10:11], v0
	s_or_b64 vcc, s[0:1], vcc
	v_addc_co_u32_e32 v0, vcc, 0, v13, vcc
	v_mul_f64 v[10:11], v[10:11], s[14:15]
	v_cmp_gt_i32_e32 vcc, 31, v12
	v_cndmask_b32_e32 v0, v4, v0, vcc
	v_cmp_ne_u32_e32 vcc, 0, v8
	v_cndmask_b32_e64 v8, 0, 1, vcc
	v_lshl_or_b32 v8, v8, 9, v4
	v_cmp_eq_u32_e32 vcc, s16, v12
	v_cndmask_b32_e32 v0, v0, v8, vcc
	v_lshrrev_b32_e32 v8, 16, v9
	v_and_or_b32 v0, v8, s10, v0
	v_and_or_b32 v8, v11, s18, v10
	v_cmp_ne_u32_e32 vcc, 0, v8
	v_cndmask_b32_e64 v8, 0, 1, vcc
	v_lshrrev_b32_e32 v9, 8, v11
	v_bfe_u32 v10, v11, 20, 11
	v_and_or_b32 v8, v9, s17, v8
	v_sub_u32_e32 v12, 0x3f1, v10
	v_or_b32_e32 v9, 0x1000, v8
	v_med3_i32 v12, v12, 0, 13
	v_lshrrev_b32_e32 v13, v12, v9
	v_lshlrev_b32_e32 v12, v12, v13
	v_cmp_ne_u32_e32 vcc, v12, v9
	v_cndmask_b32_e64 v9, 0, 1, vcc
	v_add_u32_e32 v10, 0xfffffc10, v10
	v_or_b32_e32 v9, v13, v9
	v_lshl_or_b32 v12, v10, 12, v8
	v_cmp_gt_i32_e32 vcc, 1, v10
	v_cndmask_b32_e32 v9, v12, v9, vcc
	v_and_b32_e32 v12, 7, v9
	v_cmp_lt_i32_e32 vcc, 5, v12
	v_cmp_eq_u32_e64 s[0:1], 3, v12
	v_lshrrev_b32_e32 v12, 16, v1
	v_lshrrev_b32_e32 v9, 2, v9
	s_or_b64 vcc, s[0:1], vcc
	v_mul_f16_sdwa v13, v12, v7 dst_sel:DWORD dst_unused:UNUSED_PAD src0_sel:DWORD src1_sel:WORD_1
	v_addc_co_u32_e32 v9, vcc, 0, v9, vcc
	v_fma_f16 v13, v1, v7, v13
	v_cmp_gt_i32_e32 vcc, 31, v10
	v_cvt_f32_f16_e32 v13, v13
	v_cndmask_b32_e32 v9, v4, v9, vcc
	v_cmp_ne_u32_e32 vcc, 0, v8
	v_cndmask_b32_e64 v8, 0, 1, vcc
	v_lshl_or_b32 v8, v8, 9, v4
	v_cmp_eq_u32_e32 vcc, s16, v10
	v_cndmask_b32_e32 v10, v9, v8, vcc
	v_cvt_f64_f32_e32 v[8:9], v13
	v_lshrrev_b32_e32 v11, 16, v11
	v_and_or_b32 v10, v11, s10, v10
	v_and_b32_e32 v0, 0xffff, v0
	v_lshl_or_b32 v0, v10, 16, v0
	v_mul_f64 v[9:10], v[8:9], s[14:15]
	global_load_dword v8, v26, s[6:7] offset:784
	v_mov_b32_e32 v11, s2
	v_add_co_u32_e32 v2, vcc, s3, v2
	v_addc_co_u32_e32 v3, vcc, v3, v11, vcc
	global_store_dword v[2:3], v0, off
	v_and_or_b32 v0, v10, s18, v9
	v_cmp_ne_u32_e32 vcc, 0, v0
	v_cndmask_b32_e64 v0, 0, 1, vcc
	v_lshrrev_b32_e32 v9, 8, v10
	v_bfe_u32 v11, v10, 20, 11
	v_and_or_b32 v9, v9, s17, v0
	v_sub_u32_e32 v13, 0x3f1, v11
	v_or_b32_e32 v0, 0x1000, v9
	v_med3_i32 v13, v13, 0, 13
	v_lshrrev_b32_e32 v14, v13, v0
	v_mul_f16_sdwa v1, v1, v7 dst_sel:DWORD dst_unused:UNUSED_PAD src0_sel:DWORD src1_sel:WORD_1
	v_lshlrev_b32_e32 v13, v13, v14
	v_fma_f16 v1, v7, v12, -v1
	v_cmp_ne_u32_e32 vcc, v13, v0
	v_cvt_f32_f16_e32 v1, v1
	v_cndmask_b32_e64 v0, 0, 1, vcc
	v_add_u32_e32 v13, 0xfffffc10, v11
	v_or_b32_e32 v0, v14, v0
	v_lshl_or_b32 v11, v13, 12, v9
	v_cmp_gt_i32_e32 vcc, 1, v13
	v_cndmask_b32_e32 v0, v11, v0, vcc
	v_and_b32_e32 v11, 7, v0
	v_lshrrev_b32_e32 v7, 2, v0
	v_cvt_f64_f32_e32 v[0:1], v1
	v_cmp_lt_i32_e32 vcc, 5, v11
	v_cmp_eq_u32_e64 s[0:1], 3, v11
	s_or_b64 vcc, s[0:1], vcc
	v_mul_f64 v[11:12], v[0:1], s[14:15]
	v_addc_co_u32_e32 v7, vcc, 0, v7, vcc
	v_cmp_gt_i32_e32 vcc, 31, v13
	v_cndmask_b32_e32 v7, v4, v7, vcc
	v_cmp_ne_u32_e32 vcc, 0, v9
	v_cndmask_b32_e64 v0, 0, 1, vcc
	v_lshl_or_b32 v0, v0, 9, v4
	v_cmp_eq_u32_e32 vcc, s16, v13
	v_cndmask_b32_e32 v0, v7, v0, vcc
	v_lshrrev_b32_e32 v1, 16, v10
	v_and_or_b32 v7, v1, s10, v0
	v_and_or_b32 v0, v12, s18, v11
	v_cmp_ne_u32_e32 vcc, 0, v0
	v_cndmask_b32_e64 v0, 0, 1, vcc
	v_lshrrev_b32_e32 v1, 8, v12
	v_and_or_b32 v9, v1, s17, v0
	v_bfe_u32 v1, v12, 20, 11
	v_sub_u32_e32 v10, 0x3f1, v1
	v_or_b32_e32 v0, 0x1000, v9
	v_med3_i32 v10, v10, 0, 13
	v_lshrrev_b32_e32 v11, v10, v0
	v_lshlrev_b32_e32 v10, v10, v11
	v_cmp_ne_u32_e32 vcc, v10, v0
	v_cndmask_b32_e64 v0, 0, 1, vcc
	v_add_u32_e32 v10, 0xfffffc10, v1
	v_or_b32_e32 v0, v11, v0
	v_lshl_or_b32 v1, v10, 12, v9
	v_cmp_gt_i32_e32 vcc, 1, v10
	v_cndmask_b32_e32 v0, v1, v0, vcc
	v_and_b32_e32 v1, 7, v0
	v_cmp_lt_i32_e32 vcc, 5, v1
	v_cmp_eq_u32_e64 s[0:1], 3, v1
	v_lshrrev_b32_e32 v0, 2, v0
	s_or_b64 vcc, s[0:1], vcc
	v_addc_co_u32_e32 v11, vcc, 0, v0, vcc
	ds_read2_b32 v[0:1], v26 offset0:196 offset1:224
	global_load_dword v14, v26, s[6:7] offset:896
	global_load_dword v15, v26, s[6:7] offset:1008
	;; [unrolled: 1-line block ×5, first 2 shown]
	v_cmp_gt_i32_e32 vcc, 31, v10
	v_cndmask_b32_e32 v11, v4, v11, vcc
	v_cmp_ne_u32_e32 vcc, 0, v9
	s_waitcnt lgkmcnt(0)
	v_lshrrev_b32_e32 v13, 16, v0
	v_cndmask_b32_e64 v9, 0, 1, vcc
	v_lshl_or_b32 v9, v9, 9, v4
	v_cmp_eq_u32_e32 vcc, s16, v10
	s_waitcnt vmcnt(6)
	v_mul_f16_sdwa v19, v13, v8 dst_sel:DWORD dst_unused:UNUSED_PAD src0_sel:DWORD src1_sel:WORD_1
	v_fma_f16 v19, v0, v8, v19
	v_cvt_f32_f16_e32 v19, v19
	v_cndmask_b32_e32 v11, v11, v9, vcc
	v_lshrrev_b32_e32 v12, 16, v12
	v_and_or_b32 v11, v12, s10, v11
	v_cvt_f64_f32_e32 v[9:10], v19
	v_and_b32_e32 v7, 0xffff, v7
	v_lshl_or_b32 v7, v11, 16, v7
	v_mov_b32_e32 v11, s2
	v_mul_f64 v[9:10], v[9:10], s[14:15]
	v_add_co_u32_e32 v2, vcc, s3, v2
	v_addc_co_u32_e32 v3, vcc, v3, v11, vcc
	global_store_dword v[2:3], v7, off
	v_mul_f16_sdwa v0, v0, v8 dst_sel:DWORD dst_unused:UNUSED_PAD src0_sel:DWORD src1_sel:WORD_1
	v_fma_f16 v0, v8, v13, -v0
	v_and_or_b32 v7, v10, s18, v9
	v_cmp_ne_u32_e32 vcc, 0, v7
	v_cndmask_b32_e64 v7, 0, 1, vcc
	v_lshrrev_b32_e32 v9, 8, v10
	v_bfe_u32 v11, v10, 20, 11
	v_and_or_b32 v9, v9, s17, v7
	v_sub_u32_e32 v12, 0x3f1, v11
	v_or_b32_e32 v7, 0x1000, v9
	v_med3_i32 v12, v12, 0, 13
	v_lshrrev_b32_e32 v19, v12, v7
	v_lshlrev_b32_e32 v12, v12, v19
	v_cmp_ne_u32_e32 vcc, v12, v7
	v_cndmask_b32_e64 v7, 0, 1, vcc
	v_add_u32_e32 v11, 0xfffffc10, v11
	v_cvt_f32_f16_e32 v0, v0
	v_or_b32_e32 v7, v19, v7
	v_lshl_or_b32 v12, v11, 12, v9
	v_cmp_gt_i32_e32 vcc, 1, v11
	v_cndmask_b32_e32 v7, v12, v7, vcc
	v_and_b32_e32 v12, 7, v7
	v_cmp_lt_i32_e32 vcc, 5, v12
	v_cmp_eq_u32_e64 s[0:1], 3, v12
	v_lshrrev_b32_e32 v12, 2, v7
	v_cvt_f64_f32_e32 v[7:8], v0
	s_or_b64 vcc, s[0:1], vcc
	v_addc_co_u32_e32 v0, vcc, 0, v12, vcc
	v_mul_f64 v[7:8], v[7:8], s[14:15]
	v_cmp_gt_i32_e32 vcc, 31, v11
	v_cndmask_b32_e32 v0, v4, v0, vcc
	v_cmp_ne_u32_e32 vcc, 0, v9
	v_cndmask_b32_e64 v9, 0, 1, vcc
	v_lshl_or_b32 v9, v9, 9, v4
	v_cmp_eq_u32_e32 vcc, s16, v11
	v_cndmask_b32_e32 v0, v0, v9, vcc
	v_and_or_b32 v7, v8, s18, v7
	v_lshrrev_b32_e32 v9, 16, v10
	v_cmp_ne_u32_e32 vcc, 0, v7
	v_and_or_b32 v0, v9, s10, v0
	v_cndmask_b32_e64 v7, 0, 1, vcc
	v_lshrrev_b32_e32 v9, 8, v8
	v_bfe_u32 v10, v8, 20, 11
	v_and_or_b32 v7, v9, s17, v7
	v_sub_u32_e32 v11, 0x3f1, v10
	v_or_b32_e32 v9, 0x1000, v7
	v_med3_i32 v11, v11, 0, 13
	v_lshrrev_b32_e32 v12, v11, v9
	v_lshlrev_b32_e32 v11, v11, v12
	v_cmp_ne_u32_e32 vcc, v11, v9
	v_cndmask_b32_e64 v9, 0, 1, vcc
	v_add_u32_e32 v10, 0xfffffc10, v10
	v_or_b32_e32 v9, v12, v9
	v_lshl_or_b32 v11, v10, 12, v7
	v_cmp_gt_i32_e32 vcc, 1, v10
	v_cndmask_b32_e32 v9, v11, v9, vcc
	v_and_b32_e32 v11, 7, v9
	v_cmp_lt_i32_e32 vcc, 5, v11
	v_cmp_eq_u32_e64 s[0:1], 3, v11
	v_lshrrev_b32_e32 v11, 16, v1
	v_lshrrev_b32_e32 v9, 2, v9
	s_or_b64 vcc, s[0:1], vcc
	s_waitcnt vmcnt(5)
	v_mul_f16_sdwa v12, v11, v14 dst_sel:DWORD dst_unused:UNUSED_PAD src0_sel:DWORD src1_sel:WORD_1
	v_addc_co_u32_e32 v9, vcc, 0, v9, vcc
	v_fma_f16 v12, v1, v14, v12
	v_cmp_gt_i32_e32 vcc, 31, v10
	v_cvt_f32_f16_e32 v12, v12
	v_cndmask_b32_e32 v9, v4, v9, vcc
	v_cmp_ne_u32_e32 vcc, 0, v7
	v_cndmask_b32_e64 v7, 0, 1, vcc
	v_lshl_or_b32 v7, v7, 9, v4
	v_cmp_eq_u32_e32 vcc, s16, v10
	v_cndmask_b32_e32 v9, v9, v7, vcc
	v_lshrrev_b32_e32 v10, 16, v8
	v_cvt_f64_f32_e32 v[7:8], v12
	v_and_or_b32 v9, v10, s10, v9
	v_and_b32_e32 v0, 0xffff, v0
	v_lshl_or_b32 v0, v9, 16, v0
	v_mul_f64 v[7:8], v[7:8], s[14:15]
	v_mov_b32_e32 v9, s2
	v_add_co_u32_e32 v2, vcc, s3, v2
	v_addc_co_u32_e32 v3, vcc, v3, v9, vcc
	global_store_dword v[2:3], v0, off
	v_mul_f16_sdwa v1, v1, v14 dst_sel:DWORD dst_unused:UNUSED_PAD src0_sel:DWORD src1_sel:WORD_1
	v_and_or_b32 v0, v8, s18, v7
	v_cmp_ne_u32_e32 vcc, 0, v0
	v_cndmask_b32_e64 v0, 0, 1, vcc
	v_lshrrev_b32_e32 v7, 8, v8
	v_bfe_u32 v9, v8, 20, 11
	v_and_or_b32 v7, v7, s17, v0
	v_sub_u32_e32 v10, 0x3f1, v9
	v_or_b32_e32 v0, 0x1000, v7
	v_med3_i32 v10, v10, 0, 13
	v_lshrrev_b32_e32 v13, v10, v0
	v_lshlrev_b32_e32 v10, v10, v13
	v_cmp_ne_u32_e32 vcc, v10, v0
	v_fma_f16 v1, v14, v11, -v1
	v_cndmask_b32_e64 v0, 0, 1, vcc
	v_add_u32_e32 v9, 0xfffffc10, v9
	v_cvt_f32_f16_e32 v1, v1
	v_or_b32_e32 v0, v13, v0
	v_lshl_or_b32 v10, v9, 12, v7
	v_cmp_gt_i32_e32 vcc, 1, v9
	v_cndmask_b32_e32 v0, v10, v0, vcc
	v_and_b32_e32 v10, 7, v0
	v_cmp_lt_i32_e32 vcc, 5, v10
	v_cmp_eq_u32_e64 s[0:1], 3, v10
	v_lshrrev_b32_e32 v10, 2, v0
	v_cvt_f64_f32_e32 v[0:1], v1
	s_or_b64 vcc, s[0:1], vcc
	v_addc_co_u32_e32 v10, vcc, 0, v10, vcc
	v_mul_f64 v[0:1], v[0:1], s[14:15]
	v_cmp_gt_i32_e32 vcc, 31, v9
	v_cndmask_b32_e32 v10, v4, v10, vcc
	v_cmp_ne_u32_e32 vcc, 0, v7
	v_cndmask_b32_e64 v7, 0, 1, vcc
	v_lshl_or_b32 v7, v7, 9, v4
	v_cmp_eq_u32_e32 vcc, s16, v9
	v_cndmask_b32_e32 v7, v10, v7, vcc
	v_and_or_b32 v0, v1, s18, v0
	v_lshrrev_b32_e32 v8, 16, v8
	v_cmp_ne_u32_e32 vcc, 0, v0
	v_and_or_b32 v13, v8, s10, v7
	v_cndmask_b32_e64 v0, 0, 1, vcc
	v_lshrrev_b32_e32 v7, 8, v1
	v_bfe_u32 v8, v1, 20, 11
	v_and_or_b32 v0, v7, s17, v0
	v_sub_u32_e32 v9, 0x3f1, v8
	v_or_b32_e32 v7, 0x1000, v0
	v_med3_i32 v9, v9, 0, 13
	v_lshrrev_b32_e32 v10, v9, v7
	v_lshlrev_b32_e32 v9, v9, v10
	v_cmp_ne_u32_e32 vcc, v9, v7
	v_cndmask_b32_e64 v7, 0, 1, vcc
	v_add_u32_e32 v11, 0xfffffc10, v8
	v_or_b32_e32 v7, v10, v7
	v_lshl_or_b32 v8, v11, 12, v0
	v_cmp_gt_i32_e32 vcc, 1, v11
	v_cndmask_b32_e32 v7, v8, v7, vcc
	v_and_b32_e32 v8, 7, v7
	v_cmp_lt_i32_e32 vcc, 5, v8
	v_cmp_eq_u32_e64 s[0:1], 3, v8
	v_lshrrev_b32_e32 v7, 2, v7
	s_or_b64 vcc, s[0:1], vcc
	v_add_u32_e32 v9, 0x200, v26
	v_addc_co_u32_e32 v7, vcc, 0, v7, vcc
	ds_read2_b32 v[9:10], v9 offset0:124 offset1:152
	v_or_b32_e32 v12, 0xe0, v27
	v_cmp_gt_i32_e32 vcc, 31, v11
	v_cndmask_b32_e32 v14, v4, v7, vcc
	v_mad_u64_u32 v[7:8], s[0:1], s8, v12, 0
	v_cmp_ne_u32_e32 vcc, 0, v0
	v_cndmask_b32_e64 v0, 0, 1, vcc
	v_lshl_or_b32 v0, v0, 9, v4
	v_cmp_eq_u32_e32 vcc, s16, v11
	s_waitcnt lgkmcnt(0)
	v_lshrrev_b32_e32 v19, 16, v9
	v_cndmask_b32_e32 v14, v14, v0, vcc
	v_mov_b32_e32 v0, v8
	s_waitcnt vmcnt(5)
	v_mul_f16_sdwa v8, v19, v15 dst_sel:DWORD dst_unused:UNUSED_PAD src0_sel:DWORD src1_sel:WORD_1
	v_fma_f16 v8, v9, v15, v8
	v_cvt_f32_f16_e32 v8, v8
	v_mad_u64_u32 v[11:12], s[0:1], s9, v12, v[0:1]
	v_lshrrev_b32_e32 v12, 16, v1
	v_cvt_f64_f32_e32 v[0:1], v8
	v_mov_b32_e32 v8, v11
	v_lshlrev_b64 v[7:8], 2, v[7:8]
	v_and_or_b32 v12, v12, s10, v14
	v_mul_f64 v[0:1], v[0:1], s[14:15]
	v_add_co_u32_e32 v5, vcc, v5, v7
	v_and_b32_e32 v11, 0xffff, v13
	v_addc_co_u32_e32 v6, vcc, v6, v8, vcc
	v_lshl_or_b32 v11, v12, 16, v11
	global_store_dword v[5:6], v11, off
	v_and_or_b32 v0, v1, s18, v0
	v_cmp_ne_u32_e32 vcc, 0, v0
	v_cndmask_b32_e64 v0, 0, 1, vcc
	v_lshrrev_b32_e32 v5, 8, v1
	v_bfe_u32 v6, v1, 20, 11
	v_and_or_b32 v0, v5, s17, v0
	v_sub_u32_e32 v7, 0x3f1, v6
	v_or_b32_e32 v5, 0x1000, v0
	v_med3_i32 v7, v7, 0, 13
	v_lshrrev_b32_e32 v8, v7, v5
	v_lshlrev_b32_e32 v7, v7, v8
	v_cmp_ne_u32_e32 vcc, v7, v5
	v_cndmask_b32_e64 v5, 0, 1, vcc
	v_or_b32_e32 v5, v8, v5
	v_mul_f16_sdwa v8, v9, v15 dst_sel:DWORD dst_unused:UNUSED_PAD src0_sel:DWORD src1_sel:WORD_1
	v_fma_f16 v8, v15, v19, -v8
	v_add_u32_e32 v7, 0xfffffc10, v6
	v_cvt_f32_f16_e32 v8, v8
	v_lshl_or_b32 v6, v7, 12, v0
	v_cmp_gt_i32_e32 vcc, 1, v7
	v_cndmask_b32_e32 v5, v6, v5, vcc
	v_and_b32_e32 v6, 7, v5
	v_cmp_lt_i32_e32 vcc, 5, v6
	v_cmp_eq_u32_e64 s[0:1], 3, v6
	v_lshrrev_b32_e32 v9, 2, v5
	v_cvt_f64_f32_e32 v[5:6], v8
	s_or_b64 vcc, s[0:1], vcc
	v_addc_co_u32_e32 v8, vcc, 0, v9, vcc
	v_mul_f64 v[5:6], v[5:6], s[14:15]
	v_cmp_gt_i32_e32 vcc, 31, v7
	v_cndmask_b32_e32 v8, v4, v8, vcc
	v_cmp_ne_u32_e32 vcc, 0, v0
	v_cndmask_b32_e64 v0, 0, 1, vcc
	v_lshl_or_b32 v0, v0, 9, v4
	v_cmp_eq_u32_e32 vcc, s16, v7
	v_cndmask_b32_e32 v0, v8, v0, vcc
	v_lshrrev_b32_e32 v1, 16, v1
	v_and_or_b32 v7, v1, s10, v0
	v_and_or_b32 v0, v6, s18, v5
	v_cmp_ne_u32_e32 vcc, 0, v0
	v_cndmask_b32_e64 v0, 0, 1, vcc
	v_lshrrev_b32_e32 v1, 8, v6
	v_bfe_u32 v5, v6, 20, 11
	v_and_or_b32 v0, v1, s17, v0
	v_sub_u32_e32 v8, 0x3f1, v5
	v_or_b32_e32 v1, 0x1000, v0
	v_med3_i32 v8, v8, 0, 13
	v_lshrrev_b32_e32 v9, v8, v1
	v_lshlrev_b32_e32 v8, v8, v9
	v_cmp_ne_u32_e32 vcc, v8, v1
	v_cndmask_b32_e64 v1, 0, 1, vcc
	v_add_u32_e32 v5, 0xfffffc10, v5
	v_or_b32_e32 v1, v9, v1
	v_lshl_or_b32 v8, v5, 12, v0
	v_cmp_gt_i32_e32 vcc, 1, v5
	v_cndmask_b32_e32 v1, v8, v1, vcc
	v_and_b32_e32 v8, 7, v1
	v_cmp_lt_i32_e32 vcc, 5, v8
	v_cmp_eq_u32_e64 s[0:1], 3, v8
	v_lshrrev_b32_e32 v8, 16, v10
	v_lshrrev_b32_e32 v1, 2, v1
	s_or_b64 vcc, s[0:1], vcc
	s_waitcnt vmcnt(5)
	v_mul_f16_sdwa v9, v8, v16 dst_sel:DWORD dst_unused:UNUSED_PAD src0_sel:DWORD src1_sel:WORD_1
	v_addc_co_u32_e32 v1, vcc, 0, v1, vcc
	v_fma_f16 v9, v10, v16, v9
	v_cmp_gt_i32_e32 vcc, 31, v5
	v_cvt_f32_f16_e32 v9, v9
	v_cndmask_b32_e32 v1, v4, v1, vcc
	v_cmp_ne_u32_e32 vcc, 0, v0
	v_cndmask_b32_e64 v0, 0, 1, vcc
	v_lshl_or_b32 v0, v0, 9, v4
	v_cmp_eq_u32_e32 vcc, s16, v5
	v_cndmask_b32_e32 v5, v1, v0, vcc
	v_cvt_f64_f32_e32 v[0:1], v9
	v_lshrrev_b32_e32 v6, 16, v6
	v_and_or_b32 v5, v6, s10, v5
	v_mov_b32_e32 v6, 0xe0
	v_mul_f64 v[0:1], v[0:1], s[14:15]
	v_mad_u64_u32 v[2:3], s[0:1], s8, v6, v[2:3]
	v_and_b32_e32 v6, 0xffff, v7
	s_mul_i32 s0, s9, 0xe0
	v_lshl_or_b32 v5, v5, 16, v6
	v_add_u32_e32 v3, s0, v3
	global_store_dword v[2:3], v5, off
	v_and_or_b32 v0, v1, s18, v0
	v_cmp_ne_u32_e32 vcc, 0, v0
	v_cndmask_b32_e64 v0, 0, 1, vcc
	v_lshrrev_b32_e32 v5, 8, v1
	v_bfe_u32 v6, v1, 20, 11
	v_and_or_b32 v0, v5, s17, v0
	v_sub_u32_e32 v7, 0x3f1, v6
	v_or_b32_e32 v5, 0x1000, v0
	v_med3_i32 v7, v7, 0, 13
	v_lshrrev_b32_e32 v9, v7, v5
	v_lshlrev_b32_e32 v7, v7, v9
	v_cmp_ne_u32_e32 vcc, v7, v5
	v_cndmask_b32_e64 v5, 0, 1, vcc
	v_or_b32_e32 v5, v9, v5
	v_mul_f16_sdwa v9, v10, v16 dst_sel:DWORD dst_unused:UNUSED_PAD src0_sel:DWORD src1_sel:WORD_1
	v_fma_f16 v8, v16, v8, -v9
	v_add_u32_e32 v7, 0xfffffc10, v6
	v_cvt_f32_f16_e32 v8, v8
	v_lshl_or_b32 v6, v7, 12, v0
	v_cmp_gt_i32_e32 vcc, 1, v7
	v_cndmask_b32_e32 v5, v6, v5, vcc
	v_and_b32_e32 v6, 7, v5
	v_cmp_lt_i32_e32 vcc, 5, v6
	v_cmp_eq_u32_e64 s[0:1], 3, v6
	v_lshrrev_b32_e32 v9, 2, v5
	v_cvt_f64_f32_e32 v[5:6], v8
	s_or_b64 vcc, s[0:1], vcc
	v_addc_co_u32_e32 v8, vcc, 0, v9, vcc
	v_mul_f64 v[5:6], v[5:6], s[14:15]
	v_cmp_gt_i32_e32 vcc, 31, v7
	v_cndmask_b32_e32 v8, v4, v8, vcc
	v_cmp_ne_u32_e32 vcc, 0, v0
	v_cndmask_b32_e64 v0, 0, 1, vcc
	v_lshl_or_b32 v0, v0, 9, v4
	v_cmp_eq_u32_e32 vcc, s16, v7
	v_cndmask_b32_e32 v0, v8, v0, vcc
	v_lshrrev_b32_e32 v1, 16, v1
	v_and_or_b32 v9, v1, s10, v0
	v_and_or_b32 v0, v6, s18, v5
	v_cmp_ne_u32_e32 vcc, 0, v0
	v_cndmask_b32_e64 v0, 0, 1, vcc
	v_lshrrev_b32_e32 v1, 8, v6
	v_and_or_b32 v5, v1, s17, v0
	v_bfe_u32 v1, v6, 20, 11
	v_sub_u32_e32 v7, 0x3f1, v1
	v_or_b32_e32 v0, 0x1000, v5
	v_med3_i32 v7, v7, 0, 13
	v_lshrrev_b32_e32 v8, v7, v0
	v_lshlrev_b32_e32 v7, v7, v8
	v_cmp_ne_u32_e32 vcc, v7, v0
	v_cndmask_b32_e64 v0, 0, 1, vcc
	v_add_u32_e32 v7, 0xfffffc10, v1
	v_or_b32_e32 v0, v8, v0
	v_lshl_or_b32 v1, v7, 12, v5
	v_cmp_gt_i32_e32 vcc, 1, v7
	v_cndmask_b32_e32 v0, v1, v0, vcc
	v_and_b32_e32 v1, 7, v0
	v_cmp_lt_i32_e32 vcc, 5, v1
	v_cmp_eq_u32_e64 s[0:1], 3, v1
	v_lshrrev_b32_e32 v0, 2, v0
	s_or_b64 vcc, s[0:1], vcc
	v_addc_co_u32_e32 v8, vcc, 0, v0, vcc
	v_add_u32_e32 v0, 0x400, v26
	ds_read2_b32 v[0:1], v0 offset0:52 offset1:80
	v_cmp_gt_i32_e32 vcc, 31, v7
	v_cndmask_b32_e32 v8, v4, v8, vcc
	v_cmp_ne_u32_e32 vcc, 0, v5
	v_cndmask_b32_e64 v5, 0, 1, vcc
	s_waitcnt lgkmcnt(0)
	v_lshrrev_b32_e32 v10, 16, v0
	s_waitcnt vmcnt(5)
	v_mul_f16_sdwa v11, v10, v17 dst_sel:DWORD dst_unused:UNUSED_PAD src0_sel:DWORD src1_sel:WORD_1
	v_fma_f16 v11, v0, v17, v11
	v_cvt_f32_f16_e32 v11, v11
	v_lshl_or_b32 v5, v5, 9, v4
	v_cmp_eq_u32_e32 vcc, s16, v7
	v_cndmask_b32_e32 v5, v8, v5, vcc
	v_cvt_f64_f32_e32 v[7:8], v11
	v_lshrrev_b32_e32 v6, 16, v6
	v_and_or_b32 v11, v6, s10, v5
	v_add_co_u32_e32 v2, vcc, s3, v2
	v_mul_f64 v[5:6], v[7:8], s[14:15]
	v_mov_b32_e32 v8, s2
	v_and_b32_e32 v9, 0xffff, v9
	v_addc_co_u32_e32 v3, vcc, v3, v8, vcc
	v_lshl_or_b32 v7, v11, 16, v9
	global_store_dword v[2:3], v7, off
	v_mul_f16_sdwa v0, v0, v17 dst_sel:DWORD dst_unused:UNUSED_PAD src0_sel:DWORD src1_sel:WORD_1
	v_and_or_b32 v5, v6, s18, v5
	v_cmp_ne_u32_e32 vcc, 0, v5
	v_cndmask_b32_e64 v5, 0, 1, vcc
	v_lshrrev_b32_e32 v7, 8, v6
	v_bfe_u32 v8, v6, 20, 11
	v_and_or_b32 v5, v7, s17, v5
	v_sub_u32_e32 v9, 0x3f1, v8
	v_or_b32_e32 v7, 0x1000, v5
	v_med3_i32 v9, v9, 0, 13
	v_lshrrev_b32_e32 v11, v9, v7
	v_lshlrev_b32_e32 v9, v9, v11
	v_cmp_ne_u32_e32 vcc, v9, v7
	v_fma_f16 v0, v17, v10, -v0
	v_cndmask_b32_e64 v7, 0, 1, vcc
	v_add_u32_e32 v9, 0xfffffc10, v8
	v_cvt_f32_f16_e32 v0, v0
	v_or_b32_e32 v7, v11, v7
	v_lshl_or_b32 v8, v9, 12, v5
	v_cmp_gt_i32_e32 vcc, 1, v9
	v_cndmask_b32_e32 v7, v8, v7, vcc
	v_and_b32_e32 v8, 7, v7
	v_cmp_lt_i32_e32 vcc, 5, v8
	v_cmp_eq_u32_e64 s[0:1], 3, v8
	v_lshrrev_b32_e32 v10, 2, v7
	v_cvt_f64_f32_e32 v[7:8], v0
	s_or_b64 vcc, s[0:1], vcc
	v_addc_co_u32_e32 v0, vcc, 0, v10, vcc
	v_mul_f64 v[7:8], v[7:8], s[14:15]
	v_cmp_gt_i32_e32 vcc, 31, v9
	v_cndmask_b32_e32 v0, v4, v0, vcc
	v_cmp_ne_u32_e32 vcc, 0, v5
	v_cndmask_b32_e64 v5, 0, 1, vcc
	v_lshl_or_b32 v5, v5, 9, v4
	v_cmp_eq_u32_e32 vcc, s16, v9
	v_cndmask_b32_e32 v0, v0, v5, vcc
	v_lshrrev_b32_e32 v5, 16, v6
	v_and_or_b32 v0, v5, s10, v0
	v_and_or_b32 v5, v8, s18, v7
	v_cmp_ne_u32_e32 vcc, 0, v5
	v_cndmask_b32_e64 v5, 0, 1, vcc
	v_lshrrev_b32_e32 v6, 8, v8
	v_bfe_u32 v7, v8, 20, 11
	v_and_or_b32 v5, v6, s17, v5
	v_sub_u32_e32 v9, 0x3f1, v7
	v_or_b32_e32 v6, 0x1000, v5
	v_med3_i32 v9, v9, 0, 13
	v_lshrrev_b32_e32 v10, v9, v6
	v_lshlrev_b32_e32 v9, v9, v10
	v_cmp_ne_u32_e32 vcc, v9, v6
	v_cndmask_b32_e64 v6, 0, 1, vcc
	v_add_u32_e32 v7, 0xfffffc10, v7
	v_or_b32_e32 v6, v10, v6
	v_lshl_or_b32 v9, v7, 12, v5
	v_cmp_gt_i32_e32 vcc, 1, v7
	v_cndmask_b32_e32 v6, v9, v6, vcc
	v_and_b32_e32 v9, 7, v6
	v_cmp_lt_i32_e32 vcc, 5, v9
	v_cmp_eq_u32_e64 s[0:1], 3, v9
	v_lshrrev_b32_e32 v9, 16, v1
	v_lshrrev_b32_e32 v6, 2, v6
	s_or_b64 vcc, s[0:1], vcc
	s_waitcnt vmcnt(5)
	v_mul_f16_sdwa v10, v9, v18 dst_sel:DWORD dst_unused:UNUSED_PAD src0_sel:DWORD src1_sel:WORD_1
	v_addc_co_u32_e32 v6, vcc, 0, v6, vcc
	v_fma_f16 v10, v1, v18, v10
	v_cmp_gt_i32_e32 vcc, 31, v7
	v_cvt_f32_f16_e32 v10, v10
	v_cndmask_b32_e32 v6, v4, v6, vcc
	v_cmp_ne_u32_e32 vcc, 0, v5
	v_cndmask_b32_e64 v5, 0, 1, vcc
	v_lshl_or_b32 v5, v5, 9, v4
	v_cmp_eq_u32_e32 vcc, s16, v7
	v_cndmask_b32_e32 v7, v6, v5, vcc
	v_cvt_f64_f32_e32 v[5:6], v10
	v_lshrrev_b32_e32 v8, 16, v8
	v_and_or_b32 v7, v8, s10, v7
	v_and_b32_e32 v0, 0xffff, v0
	v_mul_f64 v[5:6], v[5:6], s[14:15]
	v_lshl_or_b32 v0, v7, 16, v0
	v_mov_b32_e32 v7, s2
	v_add_co_u32_e32 v2, vcc, s3, v2
	v_addc_co_u32_e32 v3, vcc, v3, v7, vcc
	global_store_dword v[2:3], v0, off
	v_and_or_b32 v0, v6, s18, v5
	v_cmp_ne_u32_e32 vcc, 0, v0
	v_cndmask_b32_e64 v0, 0, 1, vcc
	v_lshrrev_b32_e32 v5, 8, v6
	v_bfe_u32 v7, v6, 20, 11
	v_and_or_b32 v5, v5, s17, v0
	v_sub_u32_e32 v8, 0x3f1, v7
	v_or_b32_e32 v0, 0x1000, v5
	v_med3_i32 v8, v8, 0, 13
	v_lshrrev_b32_e32 v10, v8, v0
	v_lshlrev_b32_e32 v8, v8, v10
	v_mul_f16_sdwa v1, v1, v18 dst_sel:DWORD dst_unused:UNUSED_PAD src0_sel:DWORD src1_sel:WORD_1
	v_cmp_ne_u32_e32 vcc, v8, v0
	v_fma_f16 v1, v18, v9, -v1
	v_cndmask_b32_e64 v0, 0, 1, vcc
	v_add_u32_e32 v7, 0xfffffc10, v7
	v_cvt_f32_f16_e32 v1, v1
	v_or_b32_e32 v0, v10, v0
	v_lshl_or_b32 v8, v7, 12, v5
	v_cmp_gt_i32_e32 vcc, 1, v7
	v_cndmask_b32_e32 v0, v8, v0, vcc
	v_and_b32_e32 v8, 7, v0
	v_cmp_lt_i32_e32 vcc, 5, v8
	v_cmp_eq_u32_e64 s[0:1], 3, v8
	v_lshrrev_b32_e32 v8, 2, v0
	v_cvt_f64_f32_e32 v[0:1], v1
	s_or_b64 vcc, s[0:1], vcc
	v_addc_co_u32_e32 v8, vcc, 0, v8, vcc
	v_mul_f64 v[0:1], v[0:1], s[14:15]
	v_cmp_gt_i32_e32 vcc, 31, v7
	v_cndmask_b32_e32 v8, v4, v8, vcc
	v_cmp_ne_u32_e32 vcc, 0, v5
	v_cndmask_b32_e64 v5, 0, 1, vcc
	v_lshl_or_b32 v5, v5, 9, v4
	v_cmp_eq_u32_e32 vcc, s16, v7
	v_cndmask_b32_e32 v5, v8, v5, vcc
	v_and_or_b32 v0, v1, s18, v0
	v_lshrrev_b32_e32 v6, 16, v6
	v_cmp_ne_u32_e32 vcc, 0, v0
	v_and_or_b32 v5, v6, s10, v5
	v_cndmask_b32_e64 v0, 0, 1, vcc
	v_lshrrev_b32_e32 v6, 8, v1
	v_bfe_u32 v7, v1, 20, 11
	v_and_or_b32 v0, v6, s17, v0
	v_sub_u32_e32 v8, 0x3f1, v7
	v_or_b32_e32 v6, 0x1000, v0
	v_med3_i32 v8, v8, 0, 13
	v_lshrrev_b32_e32 v9, v8, v6
	v_lshlrev_b32_e32 v8, v8, v9
	v_cmp_ne_u32_e32 vcc, v8, v6
	v_cndmask_b32_e64 v6, 0, 1, vcc
	v_add_u32_e32 v7, 0xfffffc10, v7
	v_or_b32_e32 v6, v9, v6
	v_lshl_or_b32 v8, v7, 12, v0
	v_cmp_gt_i32_e32 vcc, 1, v7
	v_cndmask_b32_e32 v6, v8, v6, vcc
	v_and_b32_e32 v8, 7, v6
	v_cmp_lt_i32_e32 vcc, 5, v8
	v_cmp_eq_u32_e64 s[0:1], 3, v8
	v_lshrrev_b32_e32 v6, 2, v6
	s_or_b64 vcc, s[0:1], vcc
	v_addc_co_u32_e32 v6, vcc, 0, v6, vcc
	v_cmp_gt_i32_e32 vcc, 31, v7
	v_cndmask_b32_e32 v6, v4, v6, vcc
	v_cmp_ne_u32_e32 vcc, 0, v0
	v_cndmask_b32_e64 v0, 0, 1, vcc
	v_lshl_or_b32 v0, v0, 9, v4
	v_cmp_eq_u32_e32 vcc, s16, v7
	v_cndmask_b32_e32 v0, v6, v0, vcc
	v_lshrrev_b32_e32 v1, 16, v1
	v_and_or_b32 v0, v1, s10, v0
	v_and_b32_e32 v1, 0xffff, v5
	v_lshl_or_b32 v4, v0, 16, v1
	v_mov_b32_e32 v1, s2
	v_add_co_u32_e32 v0, vcc, s3, v2
	v_addc_co_u32_e32 v1, vcc, v3, v1, vcc
	global_store_dword v[0:1], v4, off
.LBB0_23:
	s_endpgm
	.section	.rodata,"a",@progbits
	.p2align	6, 0x0
	.amdhsa_kernel bluestein_single_fwd_len364_dim1_half_op_CI_CI
		.amdhsa_group_segment_fixed_size 1456
		.amdhsa_private_segment_fixed_size 0
		.amdhsa_kernarg_size 104
		.amdhsa_user_sgpr_count 6
		.amdhsa_user_sgpr_private_segment_buffer 1
		.amdhsa_user_sgpr_dispatch_ptr 0
		.amdhsa_user_sgpr_queue_ptr 0
		.amdhsa_user_sgpr_kernarg_segment_ptr 1
		.amdhsa_user_sgpr_dispatch_id 0
		.amdhsa_user_sgpr_flat_scratch_init 0
		.amdhsa_user_sgpr_private_segment_size 0
		.amdhsa_uses_dynamic_stack 0
		.amdhsa_system_sgpr_private_segment_wavefront_offset 0
		.amdhsa_system_sgpr_workgroup_id_x 1
		.amdhsa_system_sgpr_workgroup_id_y 0
		.amdhsa_system_sgpr_workgroup_id_z 0
		.amdhsa_system_sgpr_workgroup_info 0
		.amdhsa_system_vgpr_workitem_id 0
		.amdhsa_next_free_vgpr 130
		.amdhsa_next_free_sgpr 30
		.amdhsa_reserve_vcc 1
		.amdhsa_reserve_flat_scratch 0
		.amdhsa_float_round_mode_32 0
		.amdhsa_float_round_mode_16_64 0
		.amdhsa_float_denorm_mode_32 3
		.amdhsa_float_denorm_mode_16_64 3
		.amdhsa_dx10_clamp 1
		.amdhsa_ieee_mode 1
		.amdhsa_fp16_overflow 0
		.amdhsa_exception_fp_ieee_invalid_op 0
		.amdhsa_exception_fp_denorm_src 0
		.amdhsa_exception_fp_ieee_div_zero 0
		.amdhsa_exception_fp_ieee_overflow 0
		.amdhsa_exception_fp_ieee_underflow 0
		.amdhsa_exception_fp_ieee_inexact 0
		.amdhsa_exception_int_div_zero 0
	.end_amdhsa_kernel
	.text
.Lfunc_end0:
	.size	bluestein_single_fwd_len364_dim1_half_op_CI_CI, .Lfunc_end0-bluestein_single_fwd_len364_dim1_half_op_CI_CI
                                        ; -- End function
	.section	.AMDGPU.csdata,"",@progbits
; Kernel info:
; codeLenInByte = 18372
; NumSgprs: 34
; NumVgprs: 130
; ScratchSize: 0
; MemoryBound: 0
; FloatMode: 240
; IeeeMode: 1
; LDSByteSize: 1456 bytes/workgroup (compile time only)
; SGPRBlocks: 4
; VGPRBlocks: 32
; NumSGPRsForWavesPerEU: 34
; NumVGPRsForWavesPerEU: 130
; Occupancy: 1
; WaveLimiterHint : 1
; COMPUTE_PGM_RSRC2:SCRATCH_EN: 0
; COMPUTE_PGM_RSRC2:USER_SGPR: 6
; COMPUTE_PGM_RSRC2:TRAP_HANDLER: 0
; COMPUTE_PGM_RSRC2:TGID_X_EN: 1
; COMPUTE_PGM_RSRC2:TGID_Y_EN: 0
; COMPUTE_PGM_RSRC2:TGID_Z_EN: 0
; COMPUTE_PGM_RSRC2:TIDIG_COMP_CNT: 0
	.type	__hip_cuid_6bea8611921f610a,@object ; @__hip_cuid_6bea8611921f610a
	.section	.bss,"aw",@nobits
	.globl	__hip_cuid_6bea8611921f610a
__hip_cuid_6bea8611921f610a:
	.byte	0                               ; 0x0
	.size	__hip_cuid_6bea8611921f610a, 1

	.ident	"AMD clang version 19.0.0git (https://github.com/RadeonOpenCompute/llvm-project roc-6.4.0 25133 c7fe45cf4b819c5991fe208aaa96edf142730f1d)"
	.section	".note.GNU-stack","",@progbits
	.addrsig
	.addrsig_sym __hip_cuid_6bea8611921f610a
	.amdgpu_metadata
---
amdhsa.kernels:
  - .args:
      - .actual_access:  read_only
        .address_space:  global
        .offset:         0
        .size:           8
        .value_kind:     global_buffer
      - .actual_access:  read_only
        .address_space:  global
        .offset:         8
        .size:           8
        .value_kind:     global_buffer
      - .actual_access:  read_only
        .address_space:  global
        .offset:         16
        .size:           8
        .value_kind:     global_buffer
      - .actual_access:  read_only
        .address_space:  global
        .offset:         24
        .size:           8
        .value_kind:     global_buffer
      - .actual_access:  read_only
        .address_space:  global
        .offset:         32
        .size:           8
        .value_kind:     global_buffer
      - .offset:         40
        .size:           8
        .value_kind:     by_value
      - .address_space:  global
        .offset:         48
        .size:           8
        .value_kind:     global_buffer
      - .address_space:  global
        .offset:         56
        .size:           8
        .value_kind:     global_buffer
      - .address_space:  global
        .offset:         64
        .size:           8
        .value_kind:     global_buffer
      - .address_space:  global
        .offset:         72
        .size:           8
        .value_kind:     global_buffer
      - .offset:         80
        .size:           4
        .value_kind:     by_value
      - .address_space:  global
        .offset:         88
        .size:           8
        .value_kind:     global_buffer
      - .address_space:  global
        .offset:         96
        .size:           8
        .value_kind:     global_buffer
    .group_segment_fixed_size: 1456
    .kernarg_segment_align: 8
    .kernarg_segment_size: 104
    .language:       OpenCL C
    .language_version:
      - 2
      - 0
    .max_flat_workgroup_size: 52
    .name:           bluestein_single_fwd_len364_dim1_half_op_CI_CI
    .private_segment_fixed_size: 0
    .sgpr_count:     34
    .sgpr_spill_count: 0
    .symbol:         bluestein_single_fwd_len364_dim1_half_op_CI_CI.kd
    .uniform_work_group_size: 1
    .uses_dynamic_stack: false
    .vgpr_count:     130
    .vgpr_spill_count: 0
    .wavefront_size: 64
amdhsa.target:   amdgcn-amd-amdhsa--gfx906
amdhsa.version:
  - 1
  - 2
...

	.end_amdgpu_metadata
